;; amdgpu-corpus repo=ROCm/aiter kind=harvested arch=n/a opt=n/a

/root/src/amdgpu-assembly/repos/ROCm__aiter/hsa/gfx942/fmoe_2stages/fmoe_stage1_bf16_pertokenFp8_doweight_g1u1_64x128_2tg_pf3.co:	file format elf64-amdgpu

Disassembly of section .text:

0000000000002a00 <_ZN5aiter57fmoe_stage1_bf16_pertokenFp8_doweight_g1u1_64x128_2tg_pf3E>:
	s_and_b32 s1, s1, 0xffff                                   // 000000002A00: 8601FF01 0000FFFF
	s_load_dwordx2 s[8:9], s[0:1], 0x0                         // 000000002A08: C0060200 00000000
	s_load_dwordx2 s[20:21], s[0:1], 0x10                      // 000000002A10: C0060500 00000010
	s_load_dwordx2 s[24:25], s[0:1], 0x20                      // 000000002A18: C0060600 00000020
	s_load_dwordx2 s[48:49], s[0:1], 0x30                      // 000000002A20: C0060C00 00000030
	s_load_dwordx2 s[28:29], s[0:1], 0x40                      // 000000002A28: C0060700 00000040
	s_load_dwordx2 s[32:33], s[0:1], 0x50                      // 000000002A30: C0060800 00000050
	s_load_dwordx2 s[36:37], s[0:1], 0x60                      // 000000002A38: C0060900 00000060
	s_load_dwordx2 s[12:13], s[0:1], 0x70                      // 000000002A40: C0060300 00000070
	s_load_dwordx2 s[44:45], s[0:1], 0x80                      // 000000002A48: C0060B00 00000080
	s_mov_b32 s89, 0                                           // 000000002A50: BED90080
	s_load_dword s64, s[0:1], 0x90                             // 000000002A54: C0021000 00000090
	s_load_dword s65, s[0:1], 0xa0                             // 000000002A5C: C0021040 000000A0
	s_load_dword s66, s[0:1], 0xb0                             // 000000002A64: C0021080 000000B0
	s_load_dword s67, s[0:1], 0xc0                             // 000000002A6C: C00210C0 000000C0
	s_load_dword s68, s[0:1], 0xd0                             // 000000002A74: C0021100 000000D0
	s_load_dword s69, s[0:1], 0xe0                             // 000000002A7C: C0021140 000000E0
	s_load_dword s71, s[0:1], 0xf0                             // 000000002A84: C00211C0 000000F0
	s_load_dword s72, s[0:1], 0x100                            // 000000002A8C: C0021200 00000100
	s_load_dword s74, s[0:1], 0x110                            // 000000002A94: C0021280 00000110
	s_load_dword s76, s[0:1], 0x120                            // 000000002A9C: C0021300 00000120
	s_load_dword s56, s[0:1], 0x130                            // 000000002AA4: C0020E00 00000130
	s_load_dword s88, s[0:1], 0x140                            // 000000002AAC: C0021600 00000140
	s_load_dword s89, s[0:1], 0x150                            // 000000002AB4: C0021640 00000150
	s_load_dwordx2 s[40:41], s[0:1], 0x160                     // 000000002ABC: C0060A00 00000160
	v_lshrrev_b32_e32 v1, 10, v0                               // 000000002AC4: 2002008A
	v_lshrrev_b32_e32 v2, 10, v1                               // 000000002AC8: 2004028A
	v_and_b32_e32 v2, 0x3ff, v2                                // 000000002ACC: 260404FF 000003FF
	v_and_b32_e32 v1, 0x3ff, v1                                // 000000002AD4: 260202FF 000003FF
	v_and_b32_e32 v0, 0x3ff, v0                                // 000000002ADC: 260000FF 000003FF
	v_lshrrev_b32_e32 v3, 6, v0                                // 000000002AE4: 20060086
	v_and_b32_e32 v0, 63, v0                                   // 000000002AE8: 260000BF
	s_mov_b32 s2, s2                                           // 000000002AEC: BE820002
	s_mov_b32 s3, s3                                           // 000000002AF0: BE830003
	s_mov_b32 s4, s4                                           // 000000002AF4: BE840004
	v_readfirstlane_b32 s7, v3                                 // 000000002AF8: 7E0E0503
	s_waitcnt lgkmcnt(0)                                       // 000000002AFC: BF8CC07F
	s_and_b32 s49, s49, 0xffff                                 // 000000002B00: 8631FF31 0000FFFF
	s_load_dword s48, s[48:49], 0x0                            // 000000002B08: C0020C18 00000000
	s_and_b32 s45, s45, 0xffff                                 // 000000002B10: 862DFF2D 0000FFFF
	s_and_b32 s9, s9, 0xffff                                   // 000000002B18: 8609FF09 0000FFFF
	s_mul_i32 s60, s66, s68                                    // 000000002B20: 923C4442
	s_mul_i32 s61, s66, 4                                      // 000000002B24: 923D8442
	s_mov_b32 s22, s60                                         // 000000002B28: BE96003C
	s_mov_b32 s26, -16                                         // 000000002B2C: BE9A00D0
	s_mov_b32 s30, s61                                         // 000000002B30: BE9E003D
	s_mov_b32 s14, 0x100                                       // 000000002B34: BE8E00FF 00000100
	s_mov_b32 s38, -16                                         // 000000002B3C: BEA600D0
	s_mov_b32 s10, -16                                         // 000000002B40: BE8A00D0
	s_mov_b32 s34, 0x200                                       // 000000002B44: BEA200FF 00000200
	s_mov_b32 s23, 0x20000                                     // 000000002B4C: BE9700FF 00020000
	s_mov_b32 s27, 0x20000                                     // 000000002B54: BE9B00FF 00020000
	s_mov_b32 s31, 0x20000                                     // 000000002B5C: BE9F00FF 00020000
	s_mov_b32 s35, 0x20000                                     // 000000002B64: BEA300FF 00020000
	s_mov_b32 s15, 0x20000                                     // 000000002B6C: BE8F00FF 00020000
	s_mov_b32 s39, 0x20000                                     // 000000002B74: BEA700FF 00020000
	s_mov_b32 s11, 0x20000                                     // 000000002B7C: BE8B00FF 00020000
	s_and_b32 s21, s21, 0xffff                                 // 000000002B84: 8615FF15 0000FFFF
	s_and_b32 s25, s25, 0xffff                                 // 000000002B8C: 8619FF19 0000FFFF
	s_and_b32 s29, s29, 0xffff                                 // 000000002B94: 861DFF1D 0000FFFF
	s_and_b32 s33, s33, 0xffff                                 // 000000002B9C: 8621FF21 0000FFFF
	s_and_b32 s13, s13, 0xffff                                 // 000000002BA4: 860DFF0D 0000FFFF
	s_and_b32 s37, s37, 0xffff                                 // 000000002BAC: 8625FF25 0000FFFF
	s_or_b32 s21, s21, 0x40000                                 // 000000002BB4: 8715FF15 00040000
	s_or_b32 s25, s25, 0x40000                                 // 000000002BBC: 8719FF19 00040000
	s_or_b32 s29, s29, 0x40000                                 // 000000002BC4: 871DFF1D 00040000
	s_or_b32 s33, s33, 0x40000                                 // 000000002BCC: 8721FF21 00040000
	s_or_b32 s13, s13, 0x40000                                 // 000000002BD4: 870DFF0D 00040000
	s_or_b32 s37, s37, 0x40000                                 // 000000002BDC: 8725FF25 00040000
	s_mov_b32 s42, -16                                         // 000000002BE4: BEAA00D0
	s_mov_b32 s43, 0x20000                                     // 000000002BE8: BEAB00FF 00020000
	s_and_b32 s41, s41, 0xffff                                 // 000000002BF0: 8629FF29 0000FFFF
	s_or_b32 s41, s41, 0x40000                                 // 000000002BF8: 8729FF29 00040000
	v_accvgpr_write_b32 a111, 0                                // 000000002C00: D3D9406F 18000080
	v_mov_b32_e32 v123, 0                                      // 000000002C08: 7EF60280
	s_waitcnt lgkmcnt(0)                                       // 000000002C0C: BF8CC07F
	s_mul_i32 s60, s3, 64                                      // 000000002C10: 923CC003
	s_cmp_lt_i32 s60, s48                                      // 000000002C14: BF04303C
	s_cbranch_scc0 label_1FEB                                  // 000000002C18: BF841F61
	s_mov_b32 s80, 0                                           // 000000002C1C: BED00080
	s_lshr_b32 s81, s64, s88                                   // 000000002C20: 8F515840
	s_mul_i32 s60, s3, 4                                       // 000000002C24: 923C8403
	s_add_u32 s44, s60, s44                                    // 000000002C28: 802C2C3C
	s_addc_u32 s45, 0, s45                                     // 000000002C2C: 822D2D80
	s_load_dword s5, s[44:45], 0x0                             // 000000002C30: C0020156 00000000
	s_mul_i32 s60, s3, 64                                      // 000000002C38: 923CC003
	s_mul_i32 s60, 4, s60                                      // 000000002C3C: 923C3C84
	s_add_u32 s12, s60, s12                                    // 000000002C40: 800C0C3C
	s_addc_u32 s13, 0, s13                                     // 000000002C44: 820D0D80
	v_and_b32_e32 v4, 15, v0                                   // 000000002C48: 2608008F
	v_lshlrev_b32_e32 v4, 2, v4                                // 000000002C4C: 24080882
	buffer_load_dword v30, v4, s[12:15], 0 offen               // 000000002C50: E0501000 80031E04
	v_add_u32_e32 v4, 64, v4                                   // 000000002C58: 680808C0
	buffer_load_dword v31, v4, s[12:15], 0 offen               // 000000002C5C: E0501000 80031F04
	v_add_u32_e32 v4, 64, v4                                   // 000000002C64: 680808C0
	buffer_load_dword v32, v4, s[12:15], 0 offen               // 000000002C68: E0501000 80032004
	v_add_u32_e32 v4, 64, v4                                   // 000000002C70: 680808C0
	buffer_load_dword v33, v4, s[12:15], 0 offen               // 000000002C74: E0501000 80032104
	v_add_u32_e32 v4, 64, v4                                   // 000000002C7C: 680808C0
	s_mul_i32 s60, 4, s7                                       // 000000002C80: 923C0784
	v_lshlrev_b32_e32 v4, 4, v0                                // 000000002C84: 24080084
	v_add_u32_e32 v4, s60, v4                                  // 000000002C88: 6808083C
	buffer_load_dword v3, v4, s[12:15], 0 offen                // 000000002C8C: E0501000 80030304
	v_mov_b32_e32 v56, 0                                       // 000000002C94: 7E700280
	v_mov_b32_e32 v88, 0                                       // 000000002C98: 7EB00280
	v_mov_b32_e32 v57, 0                                       // 000000002C9C: 7E720280
	v_mov_b32_e32 v89, 0                                       // 000000002CA0: 7EB20280
	v_mov_b32_e32 v58, 0                                       // 000000002CA4: 7E740280
	v_mov_b32_e32 v90, 0                                       // 000000002CA8: 7EB40280
	v_mov_b32_e32 v59, 0                                       // 000000002CAC: 7E760280
	v_mov_b32_e32 v91, 0                                       // 000000002CB0: 7EB60280
	v_mov_b32_e32 v60, 0                                       // 000000002CB4: 7E780280
	v_mov_b32_e32 v92, 0                                       // 000000002CB8: 7EB80280
	v_mov_b32_e32 v61, 0                                       // 000000002CBC: 7E7A0280
	v_mov_b32_e32 v93, 0                                       // 000000002CC0: 7EBA0280
	v_mov_b32_e32 v62, 0                                       // 000000002CC4: 7E7C0280
	v_mov_b32_e32 v94, 0                                       // 000000002CC8: 7EBC0280
	v_mov_b32_e32 v63, 0                                       // 000000002CCC: 7E7E0280
	v_mov_b32_e32 v95, 0                                       // 000000002CD0: 7EBE0280
	v_mov_b32_e32 v64, 0                                       // 000000002CD4: 7E800280
	v_mov_b32_e32 v96, 0                                       // 000000002CD8: 7EC00280
	v_mov_b32_e32 v65, 0                                       // 000000002CDC: 7E820280
	v_mov_b32_e32 v97, 0                                       // 000000002CE0: 7EC20280
	v_mov_b32_e32 v66, 0                                       // 000000002CE4: 7E840280
	v_mov_b32_e32 v98, 0                                       // 000000002CE8: 7EC40280
	v_mov_b32_e32 v67, 0                                       // 000000002CEC: 7E860280
	v_mov_b32_e32 v99, 0                                       // 000000002CF0: 7EC60280
	v_mov_b32_e32 v68, 0                                       // 000000002CF4: 7E880280
	v_mov_b32_e32 v100, 0                                      // 000000002CF8: 7EC80280
	v_mov_b32_e32 v69, 0                                       // 000000002CFC: 7E8A0280
	v_mov_b32_e32 v101, 0                                      // 000000002D00: 7ECA0280
	v_mov_b32_e32 v70, 0                                       // 000000002D04: 7E8C0280
	v_mov_b32_e32 v102, 0                                      // 000000002D08: 7ECC0280
	v_mov_b32_e32 v71, 0                                       // 000000002D0C: 7E8E0280
	v_mov_b32_e32 v103, 0                                      // 000000002D10: 7ECE0280
	v_mov_b32_e32 v72, 0                                       // 000000002D14: 7E900280
	v_mov_b32_e32 v104, 0                                      // 000000002D18: 7ED00280
	v_mov_b32_e32 v73, 0                                       // 000000002D1C: 7E920280
	v_mov_b32_e32 v105, 0                                      // 000000002D20: 7ED20280
	v_mov_b32_e32 v74, 0                                       // 000000002D24: 7E940280
	v_mov_b32_e32 v106, 0                                      // 000000002D28: 7ED40280
	v_mov_b32_e32 v75, 0                                       // 000000002D2C: 7E960280
	v_mov_b32_e32 v107, 0                                      // 000000002D30: 7ED60280
	v_mov_b32_e32 v76, 0                                       // 000000002D34: 7E980280
	v_mov_b32_e32 v108, 0                                      // 000000002D38: 7ED80280
	v_mov_b32_e32 v77, 0                                       // 000000002D3C: 7E9A0280
	v_mov_b32_e32 v109, 0                                      // 000000002D40: 7EDA0280
	v_mov_b32_e32 v78, 0                                       // 000000002D44: 7E9C0280
	v_mov_b32_e32 v110, 0                                      // 000000002D48: 7EDC0280
	v_mov_b32_e32 v79, 0                                       // 000000002D4C: 7E9E0280
	v_mov_b32_e32 v111, 0                                      // 000000002D50: 7EDE0280
	v_mov_b32_e32 v80, 0                                       // 000000002D54: 7EA00280
	v_mov_b32_e32 v112, 0                                      // 000000002D58: 7EE00280
	v_mov_b32_e32 v81, 0                                       // 000000002D5C: 7EA20280
	v_mov_b32_e32 v113, 0                                      // 000000002D60: 7EE20280
	v_mov_b32_e32 v82, 0                                       // 000000002D64: 7EA40280
	v_mov_b32_e32 v114, 0                                      // 000000002D68: 7EE40280
	v_mov_b32_e32 v83, 0                                       // 000000002D6C: 7EA60280
	v_mov_b32_e32 v115, 0                                      // 000000002D70: 7EE60280
	v_mov_b32_e32 v84, 0                                       // 000000002D74: 7EA80280
	v_mov_b32_e32 v116, 0                                      // 000000002D78: 7EE80280
	v_mov_b32_e32 v85, 0                                       // 000000002D7C: 7EAA0280
	v_mov_b32_e32 v117, 0                                      // 000000002D80: 7EEA0280
	v_mov_b32_e32 v86, 0                                       // 000000002D84: 7EAC0280
	v_mov_b32_e32 v118, 0                                      // 000000002D88: 7EEC0280
	v_mov_b32_e32 v87, 0                                       // 000000002D8C: 7EAE0280
	v_mov_b32_e32 v119, 0                                      // 000000002D90: 7EEE0280
	s_mul_i32 s60, s2, 0x100                                   // 000000002D94: 923CFF02 00000100
	s_cmp_eq_u32 s88, 0                                        // 000000002D9C: BF068058
	s_cselect_b32 s61, 1, 2                                    // 000000002DA0: 853D8281
	s_mul_i32 s60, s60, s61                                    // 000000002DA4: 923C3D3C
	s_mov_b32 s90, s8                                          // 000000002DA8: BEDA0008
	s_mov_b32 s91, s9                                          // 000000002DAC: BEDB0009
	s_add_u32 s8, s60, s8                                      // 000000002DB0: 8008083C
	s_addc_u32 s9, 0, s9                                       // 000000002DB4: 82090980
	v_lshrrev_b32_e32 v4, 4, v0                                // 000000002DB8: 20080084
	v_mul_lo_u32 v20, 34, v4                                   // 000000002DBC: D2850014 000208A2
	v_and_b32_e32 v4, 15, v0                                   // 000000002DC4: 2608008F
	v_mul_lo_u32 v5, 2, v4                                     // 000000002DC8: D2850005 00020882
	v_add_u32_e32 v20, v5, v20                                 // 000000002DD0: 68282905
	s_mul_i32 s60, s7, 0x88                                    // 000000002DD4: 923CFF07 00000088
	v_add_u32_e32 v20, s60, v20                                // 000000002DDC: 6828283C
	v_lshlrev_b32_e32 v20, 2, v20                              // 000000002DE0: 24282882
	v_and_b32_e32 v4, 31, v0                                   // 000000002DE4: 2608009F
	v_lshrrev_b32_e32 v4, 1, v4                                // 000000002DE8: 20080881
	v_mul_lo_u32 v21, 34, v4                                   // 000000002DEC: D2850015 000208A2
	v_lshrrev_b32_e32 v4, 5, v0                                // 000000002DF4: 20080085
	v_mul_lo_u32 v4, 8, v4                                     // 000000002DF8: D2850004 00020888
	v_add_u32_e32 v21, v21, v4                                 // 000000002E00: 682A0915
	v_and_b32_e32 v5, 1, v0                                    // 000000002E04: 260A0081
	v_add_u32_e32 v21, v5, v21                                 // 000000002E08: 682A2B05
	s_mul_i32 s60, s7, 2                                       // 000000002E0C: 923C8207
	v_add_u32_e32 v21, s60, v21                                // 000000002E10: 682A2A3C
	v_lshlrev_b32_e32 v21, 2, v21                              // 000000002E14: 242A2A82
	s_mul_i32 s60, s7, 0x820                                   // 000000002E18: 923CFF07 00000820
	s_add_u32 s48, 0, s60                                      // 000000002E20: 80303C80
	s_add_u32 s49, 0x2080, s48                                 // 000000002E24: 803130FF 00002080
	s_add_u32 s50, 0x2080, s49                                 // 000000002E2C: 803231FF 00002080
	v_lshrrev_b32_e32 v4, 4, v0                                // 000000002E34: 20080084
	v_lshlrev_b32_e32 v5, 2, v4                                // 000000002E38: 240A0882
	v_and_b32_e32 v4, 15, v0                                   // 000000002E3C: 2608008F
	v_lshrrev_b32_e32 v6, 2, v4                                // 000000002E40: 200C0882
	v_lshlrev_b32_e32 v6, 5, v6                                // 000000002E44: 240C0C85
	v_add_u32_e32 v5, v6, v5                                   // 000000002E48: 680A0B06
	v_and_b32_e32 v4, 3, v0                                    // 000000002E4C: 26080083
	v_mul_u32_u24_e32 v6, 0x208, v4                            // 000000002E50: 100C08FF 00000208
	v_add_u32_e32 v5, v6, v5                                   // 000000002E58: 680A0B06
	v_lshlrev_b32_e32 v2, 2, v5                                // 000000002E5C: 24040A82
	s_waitcnt lgkmcnt(0)                                       // 000000002E60: BF8CC07F
	s_mul_i32 s60, s2, 0x80                                    // 000000002E64: 923CFF02 00000080
	s_mul_i32 s60, s60, s69                                    // 000000002E6C: 923C453C
	s_mul_i32 s61, s5, s72                                     // 000000002E70: 923D4805
	s_add_u32 s60, s61, s60                                    // 000000002E74: 803C3C3D
	s_add_u32 s24, s60, s24                                    // 000000002E78: 8018183C
	s_addc_u32 s25, 0, s25                                     // 000000002E7C: 82191980
	s_lshr_b32 s60, s64, s88                                   // 000000002E80: 8F3C5840
	s_mul_i32 s60, s4, s60                                     // 000000002E84: 923C3C04
	s_lshr_b32 s60, s60, 7                                     // 000000002E88: 8F3C873C
	s_mul_i32 s60, s60, 0x800                                  // 000000002E8C: 923CFF3C 00000800
	s_add_u32 s24, s60, s24                                    // 000000002E94: 8018183C
	s_addc_u32 s25, 0, s25                                     // 000000002E98: 82191980
	s_lshr_b32 s60, s69, s88                                   // 000000002E9C: 8F3C5845
	s_mul_i32 s60, s4, s60                                     // 000000002EA0: 923C3C04
	s_add_u32 s20, s60, s20                                    // 000000002EA4: 8014143C
	s_addc_u32 s21, 0, s21                                     // 000000002EA8: 82151580
	s_mul_i32 s60, s7, 16                                      // 000000002EAC: 923C9007
	s_mul_i32 s60, s60, s69                                    // 000000002EB0: 923C453C
	v_lshlrev_b32_e32 v54, 4, v0                               // 000000002EB4: 246C0084
	v_add_u32_e32 v54, s60, v54                                // 000000002EB8: 686C6C3C
	s_mul_i32 s60, 64, s69                                     // 000000002EBC: 923C45C0
	v_add_u32_e32 v55, s60, v54                                // 000000002EC0: 686E6C3C
	s_mov_b32 s84, s24                                         // 000000002EC4: BED40018
	s_mov_b32 s85, s25                                         // 000000002EC8: BED50019
	s_mov_b32 s86, s26                                         // 000000002ECC: BED6001A
	s_mov_b32 s87, s27                                         // 000000002ED0: BED7001B
	s_mul_i32 s60, s69, s65                                    // 000000002ED4: 923C4145
	s_add_u32 s84, s60, s84                                    // 000000002ED8: 8054543C
	s_addc_u32 s85, 0, s85                                     // 000000002EDC: 82555580
	v_lshrrev_b32_e32 v4, 4, v0                                // 000000002EE0: 20080084
	v_lshlrev_b32_e32 v5, 2, v4                                // 000000002EE4: 240A0882
	v_and_b32_e32 v4, 15, v0                                   // 000000002EE8: 2608008F
	v_lshrrev_b32_e32 v6, 2, v4                                // 000000002EEC: 200C0882
	v_lshlrev_b32_e32 v6, 6, v6                                // 000000002EF0: 240C0C86
	v_add_u32_e32 v5, v6, v5                                   // 000000002EF4: 680A0B06
	v_and_b32_e32 v4, 3, v0                                    // 000000002EF8: 26080083
	v_add_u32_e32 v5, v4, v5                                   // 000000002EFC: 680A0B04
	v_lshlrev_b32_e32 v22, 2, v5                               // 000000002F00: 242C0A82
	s_mul_i32 s60, s7, 16                                      // 000000002F04: 923C9007
	s_mul_i32 s60, s60, 4                                      // 000000002F08: 923C843C
	v_add_u32_e32 v22, s60, v22                                // 000000002F0C: 682C2C3C
	s_mul_i32 s60, s2, 0x80                                    // 000000002F10: 923CFF02 00000080
	s_mul_i32 s60, s60, 4                                      // 000000002F18: 923C843C
	s_mul_i32 s61, s5, s74                                     // 000000002F1C: 923D4A05
	s_add_u32 s61, s61, s60                                    // 000000002F20: 803D3C3D
	s_add_u32 s32, s61, s32                                    // 000000002F24: 8020203D
	s_addc_u32 s33, 0, s33                                     // 000000002F28: 82212180
	s_mov_b32 s57, 0x80                                        // 000000002F2C: BEB900FF 00000080
	s_mov_b32 s58, 0x800                                       // 000000002F34: BEBA00FF 00000800
	s_mov_b32 s83, s58                                         // 000000002F3C: BED3003A
	s_mov_b32 s52, 0x7060302                                   // 000000002F40: BEB400FF 07060302
	s_mov_b32 s53, 0x400                                       // 000000002F48: BEB500FF 00000400
	s_mov_b32 s54, 0x40100                                     // 000000002F50: BEB600FF 00040100
	s_mov_b32 s55, 0x4020100                                   // 000000002F58: BEB700FF 04020100
	s_mov_b32 s6, 0x3fb8aa3b                                   // 000000002F60: BE8600FF 3FB8AA3B
	s_mov_b32 s78, 0xbd92220c                                  // 000000002F68: BECE00FF BD92220C
	s_mov_b32 s79, 0xbd92220c                                  // 000000002F70: BECF00FF BD92220C
	s_mov_b32 m0, s48                                          // 000000002F78: BEFC0030
	v_mov_b32_e32 v1, 0xbfcc4231                               // 000000002F7C: 7E0202FF BFCC4231
	v_mov_b32_e32 v17, 0xffff0000                              // 000000002F84: 7E2202FF FFFF0000
	v_mov_b32_e32 v18, 0x7fff0000                              // 000000002F8C: 7E2402FF 7FFF0000
	v_mov_b32_e32 v19, 0x7fff                                  // 000000002F94: 7E2602FF 00007FFF
	s_waitcnt vmcnt(0) expcnt(0) lgkmcnt(0)                    // 000000002F9C: BF8C0000
	s_mul_i32 s60, s3, 64                                      // 000000002FA0: 923CC003
	s_mul_i32 s60, 4, s60                                      // 000000002FA4: 923C3C84
	s_add_u32 s40, s60, s40                                    // 000000002FA8: 8028283C
	s_addc_u32 s41, 0, s41                                     // 000000002FAC: 82292980
	v_and_b32_e32 v4, 15, v0                                   // 000000002FB0: 2608008F
	v_lshlrev_b32_e32 v4, 2, v4                                // 000000002FB4: 24080882
	buffer_load_dword v120, v4, s[40:43], 0 offen              // 000000002FB8: E0501000 800A7804
	buffer_load_dword v121, v4, s[40:43], 0 offen offset:64    // 000000002FC0: E0501040 800A7904
	buffer_load_dword v122, v4, s[40:43], 0 offen offset:128   // 000000002FC8: E0501080 800A7A04
	buffer_load_dword v123, v4, s[40:43], 0 offen offset:192   // 000000002FD0: E05010C0 800A7B04
	v_lshrrev_b32_e32 v4, 5, v0                                // 000000002FD8: 20080085
	v_xor_b32_e32 v5, 1, v4                                    // 000000002FDC: 2A0A0881
	v_readlane_b32 s82, v3, 0                                  // 000000002FE0: D2890052 00010103
	s_and_b32 s82, s82, 0xffffff                               // 000000002FE8: 8652FF52 00FFFFFF
	v_mul_lo_u32 v6, v5, s82                                   // 000000002FF0: D2850006 0000A505
	v_readlane_b32 s82, v3, 1                                  // 000000002FF8: D2890052 00010303
	s_and_b32 s82, s82, 0xffffff                               // 000000003000: 8652FF52 00FFFFFF
	v_mul_lo_u32 v7, v4, s82                                   // 000000003008: D2850007 0000A504
	v_add_u32_e32 v46, v6, v7                                  // 000000003010: 685C0F06
	v_mul_lo_u32 v46, v46, s68                                 // 000000003014: D285002E 0000892E
	v_readlane_b32 s82, v3, 2                                  // 00000000301C: D2890052 00010503
	s_and_b32 s82, s82, 0xffffff                               // 000000003024: 8652FF52 00FFFFFF
	v_mul_lo_u32 v6, v5, s82                                   // 00000000302C: D2850006 0000A505
	v_readlane_b32 s82, v3, 3                                  // 000000003034: D2890052 00010703
	s_and_b32 s82, s82, 0xffffff                               // 00000000303C: 8652FF52 00FFFFFF
	v_mul_lo_u32 v7, v4, s82                                   // 000000003044: D2850007 0000A504
	v_add_u32_e32 v47, v6, v7                                  // 00000000304C: 685E0F06
	v_mul_lo_u32 v47, v47, s68                                 // 000000003050: D285002F 0000892F
	v_readlane_b32 s82, v3, 4                                  // 000000003058: D2890052 00010903
	s_and_b32 s82, s82, 0xffffff                               // 000000003060: 8652FF52 00FFFFFF
	v_mul_lo_u32 v6, v5, s82                                   // 000000003068: D2850006 0000A505
	v_readlane_b32 s82, v3, 5                                  // 000000003070: D2890052 00010B03
	s_and_b32 s82, s82, 0xffffff                               // 000000003078: 8652FF52 00FFFFFF
	v_mul_lo_u32 v7, v4, s82                                   // 000000003080: D2850007 0000A504
	v_add_u32_e32 v48, v6, v7                                  // 000000003088: 68600F06
	v_mul_lo_u32 v48, v48, s68                                 // 00000000308C: D2850030 00008930
	v_readlane_b32 s82, v3, 6                                  // 000000003094: D2890052 00010D03
	s_and_b32 s82, s82, 0xffffff                               // 00000000309C: 8652FF52 00FFFFFF
	v_mul_lo_u32 v6, v5, s82                                   // 0000000030A4: D2850006 0000A505
	v_readlane_b32 s82, v3, 7                                  // 0000000030AC: D2890052 00010F03
	s_and_b32 s82, s82, 0xffffff                               // 0000000030B4: 8652FF52 00FFFFFF
	v_mul_lo_u32 v7, v4, s82                                   // 0000000030BC: D2850007 0000A504
	v_add_u32_e32 v49, v6, v7                                  // 0000000030C4: 68620F06
	v_mul_lo_u32 v49, v49, s68                                 // 0000000030C8: D2850031 00008931
	v_readlane_b32 s82, v3, 8                                  // 0000000030D0: D2890052 00011103
	s_and_b32 s82, s82, 0xffffff                               // 0000000030D8: 8652FF52 00FFFFFF
	v_mul_lo_u32 v6, v5, s82                                   // 0000000030E0: D2850006 0000A505
	v_readlane_b32 s82, v3, 9                                  // 0000000030E8: D2890052 00011303
	s_and_b32 s82, s82, 0xffffff                               // 0000000030F0: 8652FF52 00FFFFFF
	v_mul_lo_u32 v7, v4, s82                                   // 0000000030F8: D2850007 0000A504
	v_add_u32_e32 v50, v6, v7                                  // 000000003100: 68640F06
	v_mul_lo_u32 v50, v50, s68                                 // 000000003104: D2850032 00008932
	v_readlane_b32 s82, v3, 10                                 // 00000000310C: D2890052 00011503
	s_and_b32 s82, s82, 0xffffff                               // 000000003114: 8652FF52 00FFFFFF
	v_mul_lo_u32 v6, v5, s82                                   // 00000000311C: D2850006 0000A505
	v_readlane_b32 s82, v3, 11                                 // 000000003124: D2890052 00011703
	s_and_b32 s82, s82, 0xffffff                               // 00000000312C: 8652FF52 00FFFFFF
	v_mul_lo_u32 v7, v4, s82                                   // 000000003134: D2850007 0000A504
	v_add_u32_e32 v51, v6, v7                                  // 00000000313C: 68660F06
	v_mul_lo_u32 v51, v51, s68                                 // 000000003140: D2850033 00008933
	v_readlane_b32 s82, v3, 12                                 // 000000003148: D2890052 00011903
	s_and_b32 s82, s82, 0xffffff                               // 000000003150: 8652FF52 00FFFFFF
	v_mul_lo_u32 v6, v5, s82                                   // 000000003158: D2850006 0000A505
	v_readlane_b32 s82, v3, 13                                 // 000000003160: D2890052 00011B03
	s_and_b32 s82, s82, 0xffffff                               // 000000003168: 8652FF52 00FFFFFF
	v_mul_lo_u32 v7, v4, s82                                   // 000000003170: D2850007 0000A504
	v_add_u32_e32 v52, v6, v7                                  // 000000003178: 68680F06
	v_mul_lo_u32 v52, v52, s68                                 // 00000000317C: D2850034 00008934
	v_readlane_b32 s82, v3, 14                                 // 000000003184: D2890052 00011D03
	s_and_b32 s82, s82, 0xffffff                               // 00000000318C: 8652FF52 00FFFFFF
	v_mul_lo_u32 v6, v5, s82                                   // 000000003194: D2850006 0000A505
	v_readlane_b32 s82, v3, 15                                 // 00000000319C: D2890052 00011F03
	s_and_b32 s82, s82, 0xffffff                               // 0000000031A4: 8652FF52 00FFFFFF
	v_mul_lo_u32 v7, v4, s82                                   // 0000000031AC: D2850007 0000A504
	v_add_u32_e32 v53, v6, v7                                  // 0000000031B4: 686A0F06
	v_mul_lo_u32 v53, v53, s68                                 // 0000000031B8: D2850035 00008935
	v_and_b32_e32 v4, 31, v0                                   // 0000000031C0: 2608009F
	v_lshlrev_b32_e32 v4, 2, v4                                // 0000000031C4: 24080882
	v_add_u32_e32 v46, v46, v4                                 // 0000000031C8: 685C092E
	v_add_u32_e32 v47, v47, v4                                 // 0000000031CC: 685E092F
	v_add_u32_e32 v48, v48, v4                                 // 0000000031D0: 68600930
	v_add_u32_e32 v49, v49, v4                                 // 0000000031D4: 68620931
	v_add_u32_e32 v50, v50, v4                                 // 0000000031D8: 68640932
	v_add_u32_e32 v51, v51, v4                                 // 0000000031DC: 68660933
	v_add_u32_e32 v52, v52, v4                                 // 0000000031E0: 68680934
	v_add_u32_e32 v53, v53, v4                                 // 0000000031E4: 686A0935
	v_and_b32_e32 v30, 0xffffff, v30                           // 0000000031E8: 263C3CFF 00FFFFFF
	v_lshlrev_b32_e32 v30, 2, v30                              // 0000000031F0: 243C3C82
	v_and_b32_e32 v31, 0xffffff, v31                           // 0000000031F4: 263E3EFF 00FFFFFF
	v_lshlrev_b32_e32 v31, 2, v31                              // 0000000031FC: 243E3E82
	v_and_b32_e32 v32, 0xffffff, v32                           // 000000003200: 264040FF 00FFFFFF
	v_lshlrev_b32_e32 v32, 2, v32                              // 000000003208: 24404082
	v_and_b32_e32 v33, 0xffffff, v33                           // 00000000320C: 264242FF 00FFFFFF
	v_lshlrev_b32_e32 v33, 2, v33                              // 000000003214: 24424282
	s_lshl_b32 s3, s66, 2                                      // 000000003218: 8E038242
	buffer_load_dword v34, v30, s[28:31], 0 offen              // 00000000321C: E0501000 8007221E
	buffer_load_dword v35, v31, s[28:31], 0 offen              // 000000003224: E0501000 8007231F
	buffer_load_dword v36, v32, s[28:31], 0 offen              // 00000000322C: E0501000 80072420
	buffer_load_dword v37, v33, s[28:31], 0 offen              // 000000003234: E0501000 80072521
	buffer_load_dword v24, v22, s[32:35], 0 offen              // 00000000323C: E0501000 80081816
	s_mul_i32 s60, 4, s65                                      // 000000003244: 923C4184
	s_add_u32 s32, s60, s32                                    // 000000003248: 8020203C
	s_addc_u32 s33, 0, s33                                     // 00000000324C: 82212180
	buffer_load_dword v27, v22, s[32:35], 0 offen              // 000000003250: E0501000 80081B16
	buffer_load_dword v46, s[20:23], 0 offen lds               // 000000003258: E0511000 8005002E
	s_add_u32 m0, 0x100, s48                                   // 000000003260: 807C30FF 00000100
	buffer_load_dword v47, s[20:23], 0 offen lds               // 000000003268: E0511000 8005002F
	s_add_u32 m0, 0x200, s48                                   // 000000003270: 807C30FF 00000200
	buffer_load_dword v48, s[20:23], 0 offen lds               // 000000003278: E0511000 80050030
	s_add_u32 m0, 0x300, s48                                   // 000000003280: 807C30FF 00000300
	buffer_load_dword v49, s[20:23], 0 offen lds               // 000000003288: E0511000 80050031
	;; [unrolled: 2-line block ×3, first 2 shown]
	s_add_u32 m0, 0x500, s48                                   // 0000000032A0: 807C30FF 00000500
	buffer_load_dword v51, s[20:23], 0 offen lds               // 0000000032A8: E0511000 80050033
	s_add_u32 m0, 0x600, s48                                   // 0000000032B0: 807C30FF 00000600
	buffer_load_dword v52, s[20:23], 0 offen lds               // 0000000032B8: E0511000 80050034
	s_add_u32 m0, 0x700, s48                                   // 0000000032C0: 807C30FF 00000700
	buffer_load_dword v53, s[20:23], 0 offen lds               // 0000000032C8: E0511000 80050035
	s_add_u32 m0, 0, s49                                       // 0000000032D0: 807C3180
	s_add_u32 s20, s57, s20                                    // 0000000032D4: 80141439
	s_addc_u32 s21, 0, s21                                     // 0000000032D8: 82151580
	buffer_load_dwordx4 a[64:67], v54, s[24:27], 0 offen       // 0000000032DC: E05C1000 80864036
	buffer_load_dwordx4 a[68:71], v54, s[24:27], 0 offen offset:1024// 0000000032E4: E05C1400 80864436
	buffer_load_dwordx4 a[72:75], v55, s[24:27], 0 offen       // 0000000032EC: E05C1000 80864837
	buffer_load_dwordx4 a[76:79], v55, s[24:27], 0 offen offset:1024// 0000000032F4: E05C1400 80864C37
	s_add_u32 s24, s58, s24                                    // 0000000032FC: 8018183A
	s_addc_u32 s25, 0, s25                                     // 000000003300: 82191980
	buffer_load_dword v46, s[20:23], 0 offen lds               // 000000003304: E0511000 8005002E
	s_add_u32 m0, 0x100, s49                                   // 00000000330C: 807C31FF 00000100
	buffer_load_dword v47, s[20:23], 0 offen lds               // 000000003314: E0511000 8005002F
	s_add_u32 m0, 0x200, s49                                   // 00000000331C: 807C31FF 00000200
	buffer_load_dword v48, s[20:23], 0 offen lds               // 000000003324: E0511000 80050030
	s_add_u32 m0, 0x300, s49                                   // 00000000332C: 807C31FF 00000300
	buffer_load_dword v49, s[20:23], 0 offen lds               // 000000003334: E0511000 80050031
	s_add_u32 m0, 0x400, s49                                   // 00000000333C: 807C31FF 00000400
	buffer_load_dword v50, s[20:23], 0 offen lds               // 000000003344: E0511000 80050032
	s_add_u32 m0, 0x500, s49                                   // 00000000334C: 807C31FF 00000500
	buffer_load_dword v51, s[20:23], 0 offen lds               // 000000003354: E0511000 80050033
	s_add_u32 m0, 0x600, s49                                   // 00000000335C: 807C31FF 00000600
	buffer_load_dword v52, s[20:23], 0 offen lds               // 000000003364: E0511000 80050034
	s_add_u32 m0, 0x700, s49                                   // 00000000336C: 807C31FF 00000700
	buffer_load_dword v53, s[20:23], 0 offen lds               // 000000003374: E0511000 80050035
	s_add_u32 m0, 0, s50                                       // 00000000337C: 807C3280
	s_add_u32 s20, s57, s20                                    // 000000003380: 80141439
	s_addc_u32 s21, 0, s21                                     // 000000003384: 82151580
	buffer_load_dwordx4 a[80:83], v54, s[84:87], 0 offen       // 000000003388: E05C1000 80955036
	buffer_load_dwordx4 a[84:87], v54, s[84:87], 0 offen offset:1024// 000000003390: E05C1400 80955436
	buffer_load_dwordx4 a[88:91], v55, s[84:87], 0 offen       // 000000003398: E05C1000 80955837
	buffer_load_dwordx4 a[92:95], v55, s[84:87], 0 offen offset:1024// 0000000033A0: E05C1400 80955C37
	s_add_u32 s84, s83, s84                                    // 0000000033A8: 80545453
	s_addc_u32 s85, 0, s85                                     // 0000000033AC: 82555580
	s_waitcnt vmcnt(16)                                        // 0000000033B0: BF8C4F70
	s_barrier                                                  // 0000000033B4: BF8A0000
	ds_read_b128 a[0:3], v2                                    // 0000000033B8: DBFE0000 00000002
	ds_read_b128 a[4:7], v2 offset:64                          // 0000000033C0: DBFE0040 04000002
	ds_read_b128 a[8:11], v2 offset:512                        // 0000000033C8: DBFE0200 08000002
	ds_read_b128 a[12:15], v2 offset:576                       // 0000000033D0: DBFE0240 0C000002
	ds_read_b128 a[16:19], v2 offset:1024                      // 0000000033D8: DBFE0400 10000002
	ds_read_b128 a[20:23], v2 offset:1088                      // 0000000033E0: DBFE0440 14000002
	ds_read_b128 a[24:27], v2 offset:1536                      // 0000000033E8: DBFE0600 18000002
	ds_read_b128 a[28:31], v2 offset:1600                      // 0000000033F0: DBFE0640 1C000002
	s_cmp_lt_i32 s7, 2                                         // 0000000033F8: BF048207
	s_cbranch_scc0 label_1137                                  // 0000000033FC: BF840EB4

0000000000003400 <label_0280>:
	s_waitcnt vmcnt(12) lgkmcnt(0)                             // 000000003400: BF8C007C
	v_mfma_f32_16x16x32_fp8_fp8 v[56:59], a[64:65], a[0:1], v[56:59]// 000000003404: D3F30038 1CE20140
	v_mfma_f32_16x16x32_fp8_fp8 v[56:59], a[66:67], a[2:3], v[56:59]// 00000000340C: D3F30038 1CE20542
	buffer_load_dwordx4 a[96:99], v54, s[24:27], 0 offen       // 000000003414: E05C1000 80866036
	v_mfma_f32_16x16x32_fp8_fp8 v[56:59], a[68:69], a[4:5], v[56:59]// 00000000341C: D3F30038 1CE20944
	v_mfma_f32_16x16x32_fp8_fp8 v[56:59], a[70:71], a[6:7], v[56:59]// 000000003424: D3F30038 1CE20D46
	v_mfma_f32_16x16x32_fp8_fp8 v[72:75], a[72:73], a[0:1], v[72:75]// 00000000342C: D3F30048 1D220148
	v_mfma_f32_16x16x32_fp8_fp8 v[72:75], a[74:75], a[2:3], v[72:75]// 000000003434: D3F30048 1D22054A
	buffer_load_dwordx4 a[100:103], v54, s[24:27], 0 offen offset:1024// 00000000343C: E05C1400 80866436
	v_mfma_f32_16x16x32_fp8_fp8 v[72:75], a[76:77], a[4:5], v[72:75]// 000000003444: D3F30048 1D22094C
	v_mfma_f32_16x16x32_fp8_fp8 v[72:75], a[78:79], a[6:7], v[72:75]// 00000000344C: D3F30048 1D220D4E
	v_mfma_f32_16x16x32_fp8_fp8 v[60:63], a[64:65], a[8:9], v[60:63]// 000000003454: D3F3003C 1CF21140
	v_mfma_f32_16x16x32_fp8_fp8 v[60:63], a[66:67], a[10:11], v[60:63]// 00000000345C: D3F3003C 1CF21542
	buffer_load_dwordx4 a[104:107], v55, s[24:27], 0 offen     // 000000003464: E05C1000 80866837
	v_mfma_f32_16x16x32_fp8_fp8 v[60:63], a[68:69], a[12:13], v[60:63]// 00000000346C: D3F3003C 1CF21944
	v_mfma_f32_16x16x32_fp8_fp8 v[60:63], a[70:71], a[14:15], v[60:63]// 000000003474: D3F3003C 1CF21D46
	v_mfma_f32_16x16x32_fp8_fp8 v[76:79], a[72:73], a[8:9], v[76:79]// 00000000347C: D3F3004C 1D321148
	v_mfma_f32_16x16x32_fp8_fp8 v[76:79], a[74:75], a[10:11], v[76:79]// 000000003484: D3F3004C 1D32154A
	buffer_load_dwordx4 a[108:111], v55, s[24:27], 0 offen offset:1024// 00000000348C: E05C1400 80866C37
	buffer_load_dword v46, s[20:23], 0 offen lds               // 000000003494: E0511000 8005002E
	s_add_u32 m0, 0x100, s50                                   // 00000000349C: 807C32FF 00000100
	v_mfma_f32_16x16x32_fp8_fp8 v[76:79], a[76:77], a[12:13], v[76:79]// 0000000034A4: D3F3004C 1D32194C
	v_mfma_f32_16x16x32_fp8_fp8 v[76:79], a[78:79], a[14:15], v[76:79]// 0000000034AC: D3F3004C 1D321D4E
	buffer_load_dword v47, s[20:23], 0 offen lds               // 0000000034B4: E0511000 8005002F
	s_add_u32 m0, 0x200, s50                                   // 0000000034BC: 807C32FF 00000200
	v_mfma_f32_16x16x32_fp8_fp8 v[64:67], a[64:65], a[16:17], v[64:67]// 0000000034C4: D3F30040 1D022140
	v_mfma_f32_16x16x32_fp8_fp8 v[64:67], a[66:67], a[18:19], v[64:67]// 0000000034CC: D3F30040 1D022542
	buffer_load_dword v48, s[20:23], 0 offen lds               // 0000000034D4: E0511000 80050030
	s_add_u32 m0, 0x300, s50                                   // 0000000034DC: 807C32FF 00000300
	v_mfma_f32_16x16x32_fp8_fp8 v[64:67], a[68:69], a[20:21], v[64:67]// 0000000034E4: D3F30040 1D022944
	v_mfma_f32_16x16x32_fp8_fp8 v[64:67], a[70:71], a[22:23], v[64:67]// 0000000034EC: D3F30040 1D022D46
	buffer_load_dword v49, s[20:23], 0 offen lds               // 0000000034F4: E0511000 80050031
	s_add_u32 m0, 0x400, s50                                   // 0000000034FC: 807C32FF 00000400
	v_mfma_f32_16x16x32_fp8_fp8 v[80:83], a[72:73], a[16:17], v[80:83]// 000000003504: D3F30050 1D422148
	v_mfma_f32_16x16x32_fp8_fp8 v[80:83], a[74:75], a[18:19], v[80:83]// 00000000350C: D3F30050 1D42254A
	buffer_load_dword v50, s[20:23], 0 offen lds               // 000000003514: E0511000 80050032
	s_add_u32 m0, 0x500, s50                                   // 00000000351C: 807C32FF 00000500
	v_mfma_f32_16x16x32_fp8_fp8 v[80:83], a[76:77], a[20:21], v[80:83]// 000000003524: D3F30050 1D42294C
	v_mfma_f32_16x16x32_fp8_fp8 v[80:83], a[78:79], a[22:23], v[80:83]// 00000000352C: D3F30050 1D422D4E
	buffer_load_dword v51, s[20:23], 0 offen lds               // 000000003534: E0511000 80050033
	s_add_u32 m0, 0x600, s50                                   // 00000000353C: 807C32FF 00000600
	v_mfma_f32_16x16x32_fp8_fp8 v[68:71], a[64:65], a[24:25], v[68:71]// 000000003544: D3F30044 1D123140
	v_mfma_f32_16x16x32_fp8_fp8 v[68:71], a[66:67], a[26:27], v[68:71]// 00000000354C: D3F30044 1D123542
	buffer_load_dword v52, s[20:23], 0 offen lds               // 000000003554: E0511000 80050034
	s_add_u32 m0, 0x700, s50                                   // 00000000355C: 807C32FF 00000700
	v_mfma_f32_16x16x32_fp8_fp8 v[68:71], a[68:69], a[28:29], v[68:71]// 000000003564: D3F30044 1D123944
	v_mfma_f32_16x16x32_fp8_fp8 v[68:71], a[70:71], a[30:31], v[68:71]// 00000000356C: D3F30044 1D123D46
	buffer_load_dword v53, s[20:23], 0 offen lds               // 000000003574: E0511000 80050035
	s_add_u32 m0, 0, s48                                       // 00000000357C: 807C3080
	v_mfma_f32_16x16x32_fp8_fp8 v[84:87], a[72:73], a[24:25], v[84:87]// 000000003580: D3F30054 1D523148
	v_mfma_f32_16x16x32_fp8_fp8 v[84:87], a[74:75], a[26:27], v[84:87]// 000000003588: D3F30054 1D52354A
	v_mfma_f32_16x16x32_fp8_fp8 v[84:87], a[76:77], a[28:29], v[84:87]// 000000003590: D3F30054 1D52394C
	v_mfma_f32_16x16x32_fp8_fp8 v[84:87], a[78:79], a[30:31], v[84:87]// 000000003598: D3F30054 1D523D4E
	s_waitcnt vmcnt(12)                                        // 0000000035A0: BF8C0F7C
	s_barrier                                                  // 0000000035A4: BF8A0000
	v_mfma_f32_16x16x32_fp8_fp8 v[88:91], a[80:81], a[0:1], v[88:91]// 0000000035A8: D3F30058 1D620150
	v_mfma_f32_16x16x32_fp8_fp8 v[88:91], a[82:83], a[2:3], v[88:91]// 0000000035B0: D3F30058 1D620552
	buffer_load_dwordx4 a[64:67], v54, s[84:87], 0 offen       // 0000000035B8: E05C1000 80954036
	v_mfma_f32_16x16x32_fp8_fp8 v[88:91], a[84:85], a[4:5], v[88:91]// 0000000035C0: D3F30058 1D620954
	v_mfma_f32_16x16x32_fp8_fp8 v[88:91], a[86:87], a[6:7], v[88:91]// 0000000035C8: D3F30058 1D620D56
	ds_read_b128 a[32:35], v2 offset:8320                      // 0000000035D0: DBFE2080 20000002
	ds_read_b128 a[36:39], v2 offset:8384                      // 0000000035D8: DBFE20C0 24000002
	v_mfma_f32_16x16x32_fp8_fp8 v[104:107], a[88:89], a[0:1], v[104:107]// 0000000035E0: D3F30068 1DA20158
	v_mfma_f32_16x16x32_fp8_fp8 v[104:107], a[90:91], a[2:3], v[104:107]// 0000000035E8: D3F30068 1DA2055A
	buffer_load_dwordx4 a[68:71], v54, s[84:87], 0 offen offset:1024// 0000000035F0: E05C1400 80954436
	v_mfma_f32_16x16x32_fp8_fp8 v[104:107], a[92:93], a[4:5], v[104:107]// 0000000035F8: D3F30068 1DA2095C
	v_mfma_f32_16x16x32_fp8_fp8 v[104:107], a[94:95], a[6:7], v[104:107]// 000000003600: D3F30068 1DA20D5E
	ds_read_b128 a[40:43], v2 offset:8832                      // 000000003608: DBFE2280 28000002
	ds_read_b128 a[44:47], v2 offset:8896                      // 000000003610: DBFE22C0 2C000002
	v_mfma_f32_16x16x32_fp8_fp8 v[92:95], a[80:81], a[8:9], v[92:95]// 000000003618: D3F3005C 1D721150
	v_mfma_f32_16x16x32_fp8_fp8 v[92:95], a[82:83], a[10:11], v[92:95]// 000000003620: D3F3005C 1D721552
	buffer_load_dwordx4 a[72:75], v55, s[84:87], 0 offen       // 000000003628: E05C1000 80954837
	v_mfma_f32_16x16x32_fp8_fp8 v[92:95], a[84:85], a[12:13], v[92:95]// 000000003630: D3F3005C 1D721954
	v_mfma_f32_16x16x32_fp8_fp8 v[92:95], a[86:87], a[14:15], v[92:95]// 000000003638: D3F3005C 1D721D56
	ds_read_b128 a[48:51], v2 offset:9344                      // 000000003640: DBFE2480 30000002
	ds_read_b128 a[52:55], v2 offset:9408                      // 000000003648: DBFE24C0 34000002
	v_mfma_f32_16x16x32_fp8_fp8 v[108:111], a[88:89], a[8:9], v[108:111]// 000000003650: D3F3006C 1DB21158
	v_mfma_f32_16x16x32_fp8_fp8 v[108:111], a[90:91], a[10:11], v[108:111]// 000000003658: D3F3006C 1DB2155A
	buffer_load_dwordx4 a[76:79], v55, s[84:87], 0 offen offset:1024// 000000003660: E05C1400 80954C37
	v_mfma_f32_16x16x32_fp8_fp8 v[108:111], a[92:93], a[12:13], v[108:111]// 000000003668: D3F3006C 1DB2195C
	v_mfma_f32_16x16x32_fp8_fp8 v[108:111], a[94:95], a[14:15], v[108:111]// 000000003670: D3F3006C 1DB21D5E
	ds_read_b128 a[56:59], v2 offset:9856                      // 000000003678: DBFE2680 38000002
	ds_read_b128 a[60:63], v2 offset:9920                      // 000000003680: DBFE26C0 3C000002
	v_mfma_f32_16x16x32_fp8_fp8 v[96:99], a[80:81], a[16:17], v[96:99]// 000000003688: D3F30060 1D822150
	v_mfma_f32_16x16x32_fp8_fp8 v[96:99], a[82:83], a[18:19], v[96:99]// 000000003690: D3F30060 1D822552
	v_mfma_f32_16x16x32_fp8_fp8 v[96:99], a[84:85], a[20:21], v[96:99]// 000000003698: D3F30060 1D822954
	v_mfma_f32_16x16x32_fp8_fp8 v[96:99], a[86:87], a[22:23], v[96:99]// 0000000036A0: D3F30060 1D822D56
	v_mfma_f32_16x16x32_fp8_fp8 v[112:115], a[88:89], a[16:17], v[112:115]// 0000000036A8: D3F30070 1DC22158
	v_mfma_f32_16x16x32_fp8_fp8 v[112:115], a[90:91], a[18:19], v[112:115]// 0000000036B0: D3F30070 1DC2255A
	v_mfma_f32_16x16x32_fp8_fp8 v[112:115], a[92:93], a[20:21], v[112:115]// 0000000036B8: D3F30070 1DC2295C
	v_mfma_f32_16x16x32_fp8_fp8 v[112:115], a[94:95], a[22:23], v[112:115]// 0000000036C0: D3F30070 1DC22D5E
	v_mfma_f32_16x16x32_fp8_fp8 v[100:103], a[80:81], a[24:25], v[100:103]// 0000000036C8: D3F30064 1D923150
	s_add_u32 s60, 0x180, s80                                  // 0000000036D0: 803C50FF 00000180
	s_cmp_lt_u32 s60, s81                                      // 0000000036D8: BF0A513C
	s_cselect_b32 s57, s57, 0                                  // 0000000036DC: 85398039
	v_mfma_f32_16x16x32_fp8_fp8 v[100:103], a[82:83], a[26:27], v[100:103]// 0000000036E0: D3F30064 1D923552
	s_add_u32 s60, 0x100, s80                                  // 0000000036E8: 803C50FF 00000100
	s_cmp_lt_u32 s60, s81                                      // 0000000036F0: BF0A513C
	s_cselect_b32 s58, s58, 0                                  // 0000000036F4: 853A803A
	v_mfma_f32_16x16x32_fp8_fp8 v[100:103], a[84:85], a[28:29], v[100:103]// 0000000036F8: D3F30064 1D923954
	s_add_u32 s60, 0x100, s80                                  // 000000003700: 803C50FF 00000100
	s_cmp_lt_u32 s60, s81                                      // 000000003708: BF0A513C
	s_cselect_b32 s83, s83, 0                                  // 00000000370C: 85538053
	v_mfma_f32_16x16x32_fp8_fp8 v[100:103], a[86:87], a[30:31], v[100:103]// 000000003710: D3F30064 1D923D56
	s_add_u32 s24, s58, s24                                    // 000000003718: 8018183A
	s_addc_u32 s25, 0, s25                                     // 00000000371C: 82191980
	v_mfma_f32_16x16x32_fp8_fp8 v[116:119], a[88:89], a[24:25], v[116:119]// 000000003720: D3F30074 1DD23158
	s_add_u32 s20, s57, s20                                    // 000000003728: 80141439
	s_addc_u32 s21, 0, s21                                     // 00000000372C: 82151580
	v_mfma_f32_16x16x32_fp8_fp8 v[116:119], a[90:91], a[26:27], v[116:119]// 000000003730: D3F30074 1DD2355A
	s_add_u32 s84, s83, s84                                    // 000000003738: 80545453
	s_addc_u32 s85, 0, s85                                     // 00000000373C: 82555580
	v_mfma_f32_16x16x32_fp8_fp8 v[116:119], a[92:93], a[28:29], v[116:119]// 000000003740: D3F30074 1DD2395C
	v_mfma_f32_16x16x32_fp8_fp8 v[116:119], a[94:95], a[30:31], v[116:119]// 000000003748: D3F30074 1DD23D5E
	s_addk_i32 s80, 0x80                                       // 000000003750: B7500080
	s_cmp_lt_i32 s80, s81                                      // 000000003754: BF045150
	s_cbranch_scc0 label_078B                                  // 000000003758: BF840434
	s_waitcnt vmcnt(12) lgkmcnt(0)                             // 00000000375C: BF8C007C
	v_mfma_f32_16x16x32_fp8_fp8 v[56:59], a[96:97], a[32:33], v[56:59]// 000000003760: D3F30038 1CE24160
	v_mfma_f32_16x16x32_fp8_fp8 v[56:59], a[98:99], a[34:35], v[56:59]// 000000003768: D3F30038 1CE24562
	buffer_load_dwordx4 a[80:83], v54, s[24:27], 0 offen       // 000000003770: E05C1000 80865036
	v_mfma_f32_16x16x32_fp8_fp8 v[56:59], a[100:101], a[36:37], v[56:59]// 000000003778: D3F30038 1CE24964
	v_mfma_f32_16x16x32_fp8_fp8 v[56:59], a[102:103], a[38:39], v[56:59]// 000000003780: D3F30038 1CE24D66
	v_mfma_f32_16x16x32_fp8_fp8 v[72:75], a[104:105], a[32:33], v[72:75]// 000000003788: D3F30048 1D224168
	v_mfma_f32_16x16x32_fp8_fp8 v[72:75], a[106:107], a[34:35], v[72:75]// 000000003790: D3F30048 1D22456A
	buffer_load_dwordx4 a[84:87], v54, s[24:27], 0 offen offset:1024// 000000003798: E05C1400 80865436
	v_mfma_f32_16x16x32_fp8_fp8 v[72:75], a[108:109], a[36:37], v[72:75]// 0000000037A0: D3F30048 1D22496C
	v_mfma_f32_16x16x32_fp8_fp8 v[72:75], a[110:111], a[38:39], v[72:75]// 0000000037A8: D3F30048 1D224D6E
	v_mfma_f32_16x16x32_fp8_fp8 v[60:63], a[96:97], a[40:41], v[60:63]// 0000000037B0: D3F3003C 1CF25160
	v_mfma_f32_16x16x32_fp8_fp8 v[60:63], a[98:99], a[42:43], v[60:63]// 0000000037B8: D3F3003C 1CF25562
	buffer_load_dwordx4 a[88:91], v55, s[24:27], 0 offen       // 0000000037C0: E05C1000 80865837
	v_mfma_f32_16x16x32_fp8_fp8 v[60:63], a[100:101], a[44:45], v[60:63]// 0000000037C8: D3F3003C 1CF25964
	v_mfma_f32_16x16x32_fp8_fp8 v[60:63], a[102:103], a[46:47], v[60:63]// 0000000037D0: D3F3003C 1CF25D66
	v_mfma_f32_16x16x32_fp8_fp8 v[76:79], a[104:105], a[40:41], v[76:79]// 0000000037D8: D3F3004C 1D325168
	v_mfma_f32_16x16x32_fp8_fp8 v[76:79], a[106:107], a[42:43], v[76:79]// 0000000037E0: D3F3004C 1D32556A
	buffer_load_dwordx4 a[92:95], v55, s[24:27], 0 offen offset:1024// 0000000037E8: E05C1400 80865C37
	buffer_load_dword v46, s[20:23], 0 offen lds               // 0000000037F0: E0511000 8005002E
	s_add_u32 m0, 0x100, s48                                   // 0000000037F8: 807C30FF 00000100
	v_mfma_f32_16x16x32_fp8_fp8 v[76:79], a[108:109], a[44:45], v[76:79]// 000000003800: D3F3004C 1D32596C
	v_mfma_f32_16x16x32_fp8_fp8 v[76:79], a[110:111], a[46:47], v[76:79]// 000000003808: D3F3004C 1D325D6E
	buffer_load_dword v47, s[20:23], 0 offen lds               // 000000003810: E0511000 8005002F
	s_add_u32 m0, 0x200, s48                                   // 000000003818: 807C30FF 00000200
	v_mfma_f32_16x16x32_fp8_fp8 v[64:67], a[96:97], a[48:49], v[64:67]// 000000003820: D3F30040 1D026160
	v_mfma_f32_16x16x32_fp8_fp8 v[64:67], a[98:99], a[50:51], v[64:67]// 000000003828: D3F30040 1D026562
	buffer_load_dword v48, s[20:23], 0 offen lds               // 000000003830: E0511000 80050030
	s_add_u32 m0, 0x300, s48                                   // 000000003838: 807C30FF 00000300
	v_mfma_f32_16x16x32_fp8_fp8 v[64:67], a[100:101], a[52:53], v[64:67]// 000000003840: D3F30040 1D026964
	v_mfma_f32_16x16x32_fp8_fp8 v[64:67], a[102:103], a[54:55], v[64:67]// 000000003848: D3F30040 1D026D66
	buffer_load_dword v49, s[20:23], 0 offen lds               // 000000003850: E0511000 80050031
	s_add_u32 m0, 0x400, s48                                   // 000000003858: 807C30FF 00000400
	v_mfma_f32_16x16x32_fp8_fp8 v[80:83], a[104:105], a[48:49], v[80:83]// 000000003860: D3F30050 1D426168
	v_mfma_f32_16x16x32_fp8_fp8 v[80:83], a[106:107], a[50:51], v[80:83]// 000000003868: D3F30050 1D42656A
	buffer_load_dword v50, s[20:23], 0 offen lds               // 000000003870: E0511000 80050032
	s_add_u32 m0, 0x500, s48                                   // 000000003878: 807C30FF 00000500
	v_mfma_f32_16x16x32_fp8_fp8 v[80:83], a[108:109], a[52:53], v[80:83]// 000000003880: D3F30050 1D42696C
	v_mfma_f32_16x16x32_fp8_fp8 v[80:83], a[110:111], a[54:55], v[80:83]// 000000003888: D3F30050 1D426D6E
	buffer_load_dword v51, s[20:23], 0 offen lds               // 000000003890: E0511000 80050033
	s_add_u32 m0, 0x600, s48                                   // 000000003898: 807C30FF 00000600
	v_mfma_f32_16x16x32_fp8_fp8 v[68:71], a[96:97], a[56:57], v[68:71]// 0000000038A0: D3F30044 1D127160
	v_mfma_f32_16x16x32_fp8_fp8 v[68:71], a[98:99], a[58:59], v[68:71]// 0000000038A8: D3F30044 1D127562
	buffer_load_dword v52, s[20:23], 0 offen lds               // 0000000038B0: E0511000 80050034
	s_add_u32 m0, 0x700, s48                                   // 0000000038B8: 807C30FF 00000700
	v_mfma_f32_16x16x32_fp8_fp8 v[68:71], a[100:101], a[60:61], v[68:71]// 0000000038C0: D3F30044 1D127964
	v_mfma_f32_16x16x32_fp8_fp8 v[68:71], a[102:103], a[62:63], v[68:71]// 0000000038C8: D3F30044 1D127D66
	buffer_load_dword v53, s[20:23], 0 offen lds               // 0000000038D0: E0511000 80050035
	s_add_u32 m0, 0, s49                                       // 0000000038D8: 807C3180
	v_mfma_f32_16x16x32_fp8_fp8 v[84:87], a[104:105], a[56:57], v[84:87]// 0000000038DC: D3F30054 1D527168
	v_mfma_f32_16x16x32_fp8_fp8 v[84:87], a[106:107], a[58:59], v[84:87]// 0000000038E4: D3F30054 1D52756A
	v_mfma_f32_16x16x32_fp8_fp8 v[84:87], a[108:109], a[60:61], v[84:87]// 0000000038EC: D3F30054 1D52796C
	v_mfma_f32_16x16x32_fp8_fp8 v[84:87], a[110:111], a[62:63], v[84:87]// 0000000038F4: D3F30054 1D527D6E
	s_waitcnt vmcnt(12)                                        // 0000000038FC: BF8C0F7C
	s_barrier                                                  // 000000003900: BF8A0000
	v_mfma_f32_16x16x32_fp8_fp8 v[88:91], a[64:65], a[32:33], v[88:91]// 000000003904: D3F30058 1D624140
	v_mfma_f32_16x16x32_fp8_fp8 v[88:91], a[66:67], a[34:35], v[88:91]// 00000000390C: D3F30058 1D624542
	buffer_load_dwordx4 a[96:99], v54, s[84:87], 0 offen       // 000000003914: E05C1000 80956036
	v_mfma_f32_16x16x32_fp8_fp8 v[88:91], a[68:69], a[36:37], v[88:91]// 00000000391C: D3F30058 1D624944
	v_mfma_f32_16x16x32_fp8_fp8 v[88:91], a[70:71], a[38:39], v[88:91]// 000000003924: D3F30058 1D624D46
	ds_read_b128 a[0:3], v2 offset:16640                       // 00000000392C: DBFE4100 00000002
	ds_read_b128 a[4:7], v2 offset:16704                       // 000000003934: DBFE4140 04000002
	v_mfma_f32_16x16x32_fp8_fp8 v[104:107], a[72:73], a[32:33], v[104:107]// 00000000393C: D3F30068 1DA24148
	v_mfma_f32_16x16x32_fp8_fp8 v[104:107], a[74:75], a[34:35], v[104:107]// 000000003944: D3F30068 1DA2454A
	buffer_load_dwordx4 a[100:103], v54, s[84:87], 0 offen offset:1024// 00000000394C: E05C1400 80956436
	v_mfma_f32_16x16x32_fp8_fp8 v[104:107], a[76:77], a[36:37], v[104:107]// 000000003954: D3F30068 1DA2494C
	v_mfma_f32_16x16x32_fp8_fp8 v[104:107], a[78:79], a[38:39], v[104:107]// 00000000395C: D3F30068 1DA24D4E
	ds_read_b128 a[8:11], v2 offset:17152                      // 000000003964: DBFE4300 08000002
	ds_read_b128 a[12:15], v2 offset:17216                     // 00000000396C: DBFE4340 0C000002
	v_mfma_f32_16x16x32_fp8_fp8 v[92:95], a[64:65], a[40:41], v[92:95]// 000000003974: D3F3005C 1D725140
	v_mfma_f32_16x16x32_fp8_fp8 v[92:95], a[66:67], a[42:43], v[92:95]// 00000000397C: D3F3005C 1D725542
	buffer_load_dwordx4 a[104:107], v55, s[84:87], 0 offen     // 000000003984: E05C1000 80956837
	v_mfma_f32_16x16x32_fp8_fp8 v[92:95], a[68:69], a[44:45], v[92:95]// 00000000398C: D3F3005C 1D725944
	v_mfma_f32_16x16x32_fp8_fp8 v[92:95], a[70:71], a[46:47], v[92:95]// 000000003994: D3F3005C 1D725D46
	ds_read_b128 a[16:19], v2 offset:17664                     // 00000000399C: DBFE4500 10000002
	ds_read_b128 a[20:23], v2 offset:17728                     // 0000000039A4: DBFE4540 14000002
	v_mfma_f32_16x16x32_fp8_fp8 v[108:111], a[72:73], a[40:41], v[108:111]// 0000000039AC: D3F3006C 1DB25148
	v_mfma_f32_16x16x32_fp8_fp8 v[108:111], a[74:75], a[42:43], v[108:111]// 0000000039B4: D3F3006C 1DB2554A
	buffer_load_dwordx4 a[108:111], v55, s[84:87], 0 offen offset:1024// 0000000039BC: E05C1400 80956C37
	v_mfma_f32_16x16x32_fp8_fp8 v[108:111], a[76:77], a[44:45], v[108:111]// 0000000039C4: D3F3006C 1DB2594C
	v_mfma_f32_16x16x32_fp8_fp8 v[108:111], a[78:79], a[46:47], v[108:111]// 0000000039CC: D3F3006C 1DB25D4E
	ds_read_b128 a[24:27], v2 offset:18176                     // 0000000039D4: DBFE4700 18000002
	ds_read_b128 a[28:31], v2 offset:18240                     // 0000000039DC: DBFE4740 1C000002
	v_mfma_f32_16x16x32_fp8_fp8 v[96:99], a[64:65], a[48:49], v[96:99]// 0000000039E4: D3F30060 1D826140
	v_mfma_f32_16x16x32_fp8_fp8 v[96:99], a[66:67], a[50:51], v[96:99]// 0000000039EC: D3F30060 1D826542
	v_mfma_f32_16x16x32_fp8_fp8 v[96:99], a[68:69], a[52:53], v[96:99]// 0000000039F4: D3F30060 1D826944
	v_mfma_f32_16x16x32_fp8_fp8 v[96:99], a[70:71], a[54:55], v[96:99]// 0000000039FC: D3F30060 1D826D46
	v_mfma_f32_16x16x32_fp8_fp8 v[112:115], a[72:73], a[48:49], v[112:115]// 000000003A04: D3F30070 1DC26148
	v_mfma_f32_16x16x32_fp8_fp8 v[112:115], a[74:75], a[50:51], v[112:115]// 000000003A0C: D3F30070 1DC2654A
	v_mfma_f32_16x16x32_fp8_fp8 v[112:115], a[76:77], a[52:53], v[112:115]// 000000003A14: D3F30070 1DC2694C
	v_mfma_f32_16x16x32_fp8_fp8 v[112:115], a[78:79], a[54:55], v[112:115]// 000000003A1C: D3F30070 1DC26D4E
	v_mfma_f32_16x16x32_fp8_fp8 v[100:103], a[64:65], a[56:57], v[100:103]// 000000003A24: D3F30064 1D927140
	s_add_u32 s60, 0x180, s80                                  // 000000003A2C: 803C50FF 00000180
	s_cmp_lt_u32 s60, s81                                      // 000000003A34: BF0A513C
	s_cselect_b32 s57, s57, 0                                  // 000000003A38: 85398039
	v_mfma_f32_16x16x32_fp8_fp8 v[100:103], a[66:67], a[58:59], v[100:103]// 000000003A3C: D3F30064 1D927542
	s_add_u32 s60, 0x100, s80                                  // 000000003A44: 803C50FF 00000100
	s_cmp_lt_u32 s60, s81                                      // 000000003A4C: BF0A513C
	s_cselect_b32 s58, s58, 0                                  // 000000003A50: 853A803A
	v_mfma_f32_16x16x32_fp8_fp8 v[100:103], a[68:69], a[60:61], v[100:103]// 000000003A54: D3F30064 1D927944
	s_add_u32 s60, 0x100, s80                                  // 000000003A5C: 803C50FF 00000100
	s_cmp_lt_u32 s60, s81                                      // 000000003A64: BF0A513C
	s_cselect_b32 s83, s83, 0                                  // 000000003A68: 85538053
	v_mfma_f32_16x16x32_fp8_fp8 v[100:103], a[70:71], a[62:63], v[100:103]// 000000003A6C: D3F30064 1D927D46
	s_add_u32 s24, s58, s24                                    // 000000003A74: 8018183A
	s_addc_u32 s25, 0, s25                                     // 000000003A78: 82191980
	v_mfma_f32_16x16x32_fp8_fp8 v[116:119], a[72:73], a[56:57], v[116:119]// 000000003A7C: D3F30074 1DD27148
	s_add_u32 s20, s57, s20                                    // 000000003A84: 80141439
	s_addc_u32 s21, 0, s21                                     // 000000003A88: 82151580
	v_mfma_f32_16x16x32_fp8_fp8 v[116:119], a[74:75], a[58:59], v[116:119]// 000000003A8C: D3F30074 1DD2754A
	s_add_u32 s84, s83, s84                                    // 000000003A94: 80545453
	s_addc_u32 s85, 0, s85                                     // 000000003A98: 82555580
	v_mfma_f32_16x16x32_fp8_fp8 v[116:119], a[76:77], a[60:61], v[116:119]// 000000003A9C: D3F30074 1DD2794C
	v_mfma_f32_16x16x32_fp8_fp8 v[116:119], a[78:79], a[62:63], v[116:119]// 000000003AA4: D3F30074 1DD27D4E
	s_addk_i32 s80, 0x80                                       // 000000003AAC: B7500080
	s_cmp_lt_i32 s80, s81                                      // 000000003AB0: BF045150
	s_cbranch_scc0 label_078B                                  // 000000003AB4: BF84035D
	s_waitcnt vmcnt(12) lgkmcnt(0)                             // 000000003AB8: BF8C007C
	v_mfma_f32_16x16x32_fp8_fp8 v[56:59], a[80:81], a[0:1], v[56:59]// 000000003ABC: D3F30038 1CE20150
	v_mfma_f32_16x16x32_fp8_fp8 v[56:59], a[82:83], a[2:3], v[56:59]// 000000003AC4: D3F30038 1CE20552
	buffer_load_dwordx4 a[64:67], v54, s[24:27], 0 offen       // 000000003ACC: E05C1000 80864036
	v_mfma_f32_16x16x32_fp8_fp8 v[56:59], a[84:85], a[4:5], v[56:59]// 000000003AD4: D3F30038 1CE20954
	v_mfma_f32_16x16x32_fp8_fp8 v[56:59], a[86:87], a[6:7], v[56:59]// 000000003ADC: D3F30038 1CE20D56
	v_mfma_f32_16x16x32_fp8_fp8 v[72:75], a[88:89], a[0:1], v[72:75]// 000000003AE4: D3F30048 1D220158
	v_mfma_f32_16x16x32_fp8_fp8 v[72:75], a[90:91], a[2:3], v[72:75]// 000000003AEC: D3F30048 1D22055A
	buffer_load_dwordx4 a[68:71], v54, s[24:27], 0 offen offset:1024// 000000003AF4: E05C1400 80864436
	v_mfma_f32_16x16x32_fp8_fp8 v[72:75], a[92:93], a[4:5], v[72:75]// 000000003AFC: D3F30048 1D22095C
	v_mfma_f32_16x16x32_fp8_fp8 v[72:75], a[94:95], a[6:7], v[72:75]// 000000003B04: D3F30048 1D220D5E
	v_mfma_f32_16x16x32_fp8_fp8 v[60:63], a[80:81], a[8:9], v[60:63]// 000000003B0C: D3F3003C 1CF21150
	v_mfma_f32_16x16x32_fp8_fp8 v[60:63], a[82:83], a[10:11], v[60:63]// 000000003B14: D3F3003C 1CF21552
	buffer_load_dwordx4 a[72:75], v55, s[24:27], 0 offen       // 000000003B1C: E05C1000 80864837
	v_mfma_f32_16x16x32_fp8_fp8 v[60:63], a[84:85], a[12:13], v[60:63]// 000000003B24: D3F3003C 1CF21954
	v_mfma_f32_16x16x32_fp8_fp8 v[60:63], a[86:87], a[14:15], v[60:63]// 000000003B2C: D3F3003C 1CF21D56
	v_mfma_f32_16x16x32_fp8_fp8 v[76:79], a[88:89], a[8:9], v[76:79]// 000000003B34: D3F3004C 1D321158
	v_mfma_f32_16x16x32_fp8_fp8 v[76:79], a[90:91], a[10:11], v[76:79]// 000000003B3C: D3F3004C 1D32155A
	buffer_load_dwordx4 a[76:79], v55, s[24:27], 0 offen offset:1024// 000000003B44: E05C1400 80864C37
	buffer_load_dword v46, s[20:23], 0 offen lds               // 000000003B4C: E0511000 8005002E
	s_add_u32 m0, 0x100, s49                                   // 000000003B54: 807C31FF 00000100
	v_mfma_f32_16x16x32_fp8_fp8 v[76:79], a[92:93], a[12:13], v[76:79]// 000000003B5C: D3F3004C 1D32195C
	v_mfma_f32_16x16x32_fp8_fp8 v[76:79], a[94:95], a[14:15], v[76:79]// 000000003B64: D3F3004C 1D321D5E
	buffer_load_dword v47, s[20:23], 0 offen lds               // 000000003B6C: E0511000 8005002F
	s_add_u32 m0, 0x200, s49                                   // 000000003B74: 807C31FF 00000200
	v_mfma_f32_16x16x32_fp8_fp8 v[64:67], a[80:81], a[16:17], v[64:67]// 000000003B7C: D3F30040 1D022150
	v_mfma_f32_16x16x32_fp8_fp8 v[64:67], a[82:83], a[18:19], v[64:67]// 000000003B84: D3F30040 1D022552
	buffer_load_dword v48, s[20:23], 0 offen lds               // 000000003B8C: E0511000 80050030
	s_add_u32 m0, 0x300, s49                                   // 000000003B94: 807C31FF 00000300
	v_mfma_f32_16x16x32_fp8_fp8 v[64:67], a[84:85], a[20:21], v[64:67]// 000000003B9C: D3F30040 1D022954
	v_mfma_f32_16x16x32_fp8_fp8 v[64:67], a[86:87], a[22:23], v[64:67]// 000000003BA4: D3F30040 1D022D56
	buffer_load_dword v49, s[20:23], 0 offen lds               // 000000003BAC: E0511000 80050031
	s_add_u32 m0, 0x400, s49                                   // 000000003BB4: 807C31FF 00000400
	v_mfma_f32_16x16x32_fp8_fp8 v[80:83], a[88:89], a[16:17], v[80:83]// 000000003BBC: D3F30050 1D422158
	v_mfma_f32_16x16x32_fp8_fp8 v[80:83], a[90:91], a[18:19], v[80:83]// 000000003BC4: D3F30050 1D42255A
	buffer_load_dword v50, s[20:23], 0 offen lds               // 000000003BCC: E0511000 80050032
	s_add_u32 m0, 0x500, s49                                   // 000000003BD4: 807C31FF 00000500
	v_mfma_f32_16x16x32_fp8_fp8 v[80:83], a[92:93], a[20:21], v[80:83]// 000000003BDC: D3F30050 1D42295C
	v_mfma_f32_16x16x32_fp8_fp8 v[80:83], a[94:95], a[22:23], v[80:83]// 000000003BE4: D3F30050 1D422D5E
	buffer_load_dword v51, s[20:23], 0 offen lds               // 000000003BEC: E0511000 80050033
	s_add_u32 m0, 0x600, s49                                   // 000000003BF4: 807C31FF 00000600
	v_mfma_f32_16x16x32_fp8_fp8 v[68:71], a[80:81], a[24:25], v[68:71]// 000000003BFC: D3F30044 1D123150
	v_mfma_f32_16x16x32_fp8_fp8 v[68:71], a[82:83], a[26:27], v[68:71]// 000000003C04: D3F30044 1D123552
	buffer_load_dword v52, s[20:23], 0 offen lds               // 000000003C0C: E0511000 80050034
	s_add_u32 m0, 0x700, s49                                   // 000000003C14: 807C31FF 00000700
	v_mfma_f32_16x16x32_fp8_fp8 v[68:71], a[84:85], a[28:29], v[68:71]// 000000003C1C: D3F30044 1D123954
	v_mfma_f32_16x16x32_fp8_fp8 v[68:71], a[86:87], a[30:31], v[68:71]// 000000003C24: D3F30044 1D123D56
	buffer_load_dword v53, s[20:23], 0 offen lds               // 000000003C2C: E0511000 80050035
	s_add_u32 m0, 0, s50                                       // 000000003C34: 807C3280
	v_mfma_f32_16x16x32_fp8_fp8 v[84:87], a[88:89], a[24:25], v[84:87]// 000000003C38: D3F30054 1D523158
	v_mfma_f32_16x16x32_fp8_fp8 v[84:87], a[90:91], a[26:27], v[84:87]// 000000003C40: D3F30054 1D52355A
	v_mfma_f32_16x16x32_fp8_fp8 v[84:87], a[92:93], a[28:29], v[84:87]// 000000003C48: D3F30054 1D52395C
	v_mfma_f32_16x16x32_fp8_fp8 v[84:87], a[94:95], a[30:31], v[84:87]// 000000003C50: D3F30054 1D523D5E
	s_waitcnt vmcnt(12)                                        // 000000003C58: BF8C0F7C
	s_barrier                                                  // 000000003C5C: BF8A0000
	v_mfma_f32_16x16x32_fp8_fp8 v[88:91], a[96:97], a[0:1], v[88:91]// 000000003C60: D3F30058 1D620160
	v_mfma_f32_16x16x32_fp8_fp8 v[88:91], a[98:99], a[2:3], v[88:91]// 000000003C68: D3F30058 1D620562
	buffer_load_dwordx4 a[80:83], v54, s[84:87], 0 offen       // 000000003C70: E05C1000 80955036
	v_mfma_f32_16x16x32_fp8_fp8 v[88:91], a[100:101], a[4:5], v[88:91]// 000000003C78: D3F30058 1D620964
	v_mfma_f32_16x16x32_fp8_fp8 v[88:91], a[102:103], a[6:7], v[88:91]// 000000003C80: D3F30058 1D620D66
	ds_read_b128 a[32:35], v2                                  // 000000003C88: DBFE0000 20000002
	ds_read_b128 a[36:39], v2 offset:64                        // 000000003C90: DBFE0040 24000002
	v_mfma_f32_16x16x32_fp8_fp8 v[104:107], a[104:105], a[0:1], v[104:107]// 000000003C98: D3F30068 1DA20168
	v_mfma_f32_16x16x32_fp8_fp8 v[104:107], a[106:107], a[2:3], v[104:107]// 000000003CA0: D3F30068 1DA2056A
	buffer_load_dwordx4 a[84:87], v54, s[84:87], 0 offen offset:1024// 000000003CA8: E05C1400 80955436
	v_mfma_f32_16x16x32_fp8_fp8 v[104:107], a[108:109], a[4:5], v[104:107]// 000000003CB0: D3F30068 1DA2096C
	v_mfma_f32_16x16x32_fp8_fp8 v[104:107], a[110:111], a[6:7], v[104:107]// 000000003CB8: D3F30068 1DA20D6E
	ds_read_b128 a[40:43], v2 offset:512                       // 000000003CC0: DBFE0200 28000002
	ds_read_b128 a[44:47], v2 offset:576                       // 000000003CC8: DBFE0240 2C000002
	v_mfma_f32_16x16x32_fp8_fp8 v[92:95], a[96:97], a[8:9], v[92:95]// 000000003CD0: D3F3005C 1D721160
	v_mfma_f32_16x16x32_fp8_fp8 v[92:95], a[98:99], a[10:11], v[92:95]// 000000003CD8: D3F3005C 1D721562
	buffer_load_dwordx4 a[88:91], v55, s[84:87], 0 offen       // 000000003CE0: E05C1000 80955837
	v_mfma_f32_16x16x32_fp8_fp8 v[92:95], a[100:101], a[12:13], v[92:95]// 000000003CE8: D3F3005C 1D721964
	v_mfma_f32_16x16x32_fp8_fp8 v[92:95], a[102:103], a[14:15], v[92:95]// 000000003CF0: D3F3005C 1D721D66
	ds_read_b128 a[48:51], v2 offset:1024                      // 000000003CF8: DBFE0400 30000002
	ds_read_b128 a[52:55], v2 offset:1088                      // 000000003D00: DBFE0440 34000002
	v_mfma_f32_16x16x32_fp8_fp8 v[108:111], a[104:105], a[8:9], v[108:111]// 000000003D08: D3F3006C 1DB21168
	v_mfma_f32_16x16x32_fp8_fp8 v[108:111], a[106:107], a[10:11], v[108:111]// 000000003D10: D3F3006C 1DB2156A
	buffer_load_dwordx4 a[92:95], v55, s[84:87], 0 offen offset:1024// 000000003D18: E05C1400 80955C37
	v_mfma_f32_16x16x32_fp8_fp8 v[108:111], a[108:109], a[12:13], v[108:111]// 000000003D20: D3F3006C 1DB2196C
	v_mfma_f32_16x16x32_fp8_fp8 v[108:111], a[110:111], a[14:15], v[108:111]// 000000003D28: D3F3006C 1DB21D6E
	ds_read_b128 a[56:59], v2 offset:1536                      // 000000003D30: DBFE0600 38000002
	ds_read_b128 a[60:63], v2 offset:1600                      // 000000003D38: DBFE0640 3C000002
	v_mfma_f32_16x16x32_fp8_fp8 v[96:99], a[96:97], a[16:17], v[96:99]// 000000003D40: D3F30060 1D822160
	v_mfma_f32_16x16x32_fp8_fp8 v[96:99], a[98:99], a[18:19], v[96:99]// 000000003D48: D3F30060 1D822562
	v_mfma_f32_16x16x32_fp8_fp8 v[96:99], a[100:101], a[20:21], v[96:99]// 000000003D50: D3F30060 1D822964
	v_mfma_f32_16x16x32_fp8_fp8 v[96:99], a[102:103], a[22:23], v[96:99]// 000000003D58: D3F30060 1D822D66
	v_mfma_f32_16x16x32_fp8_fp8 v[112:115], a[104:105], a[16:17], v[112:115]// 000000003D60: D3F30070 1DC22168
	v_mfma_f32_16x16x32_fp8_fp8 v[112:115], a[106:107], a[18:19], v[112:115]// 000000003D68: D3F30070 1DC2256A
	v_mfma_f32_16x16x32_fp8_fp8 v[112:115], a[108:109], a[20:21], v[112:115]// 000000003D70: D3F30070 1DC2296C
	v_mfma_f32_16x16x32_fp8_fp8 v[112:115], a[110:111], a[22:23], v[112:115]// 000000003D78: D3F30070 1DC22D6E
	v_mfma_f32_16x16x32_fp8_fp8 v[100:103], a[96:97], a[24:25], v[100:103]// 000000003D80: D3F30064 1D923160
	s_add_u32 s60, 0x180, s80                                  // 000000003D88: 803C50FF 00000180
	s_cmp_lt_u32 s60, s81                                      // 000000003D90: BF0A513C
	s_cselect_b32 s57, s57, 0                                  // 000000003D94: 85398039
	v_mfma_f32_16x16x32_fp8_fp8 v[100:103], a[98:99], a[26:27], v[100:103]// 000000003D98: D3F30064 1D923562
	s_add_u32 s60, 0x100, s80                                  // 000000003DA0: 803C50FF 00000100
	s_cmp_lt_u32 s60, s81                                      // 000000003DA8: BF0A513C
	s_cselect_b32 s58, s58, 0                                  // 000000003DAC: 853A803A
	v_mfma_f32_16x16x32_fp8_fp8 v[100:103], a[100:101], a[28:29], v[100:103]// 000000003DB0: D3F30064 1D923964
	s_add_u32 s60, 0x100, s80                                  // 000000003DB8: 803C50FF 00000100
	s_cmp_lt_u32 s60, s81                                      // 000000003DC0: BF0A513C
	s_cselect_b32 s83, s83, 0                                  // 000000003DC4: 85538053
	v_mfma_f32_16x16x32_fp8_fp8 v[100:103], a[102:103], a[30:31], v[100:103]// 000000003DC8: D3F30064 1D923D66
	s_add_u32 s24, s58, s24                                    // 000000003DD0: 8018183A
	s_addc_u32 s25, 0, s25                                     // 000000003DD4: 82191980
	v_mfma_f32_16x16x32_fp8_fp8 v[116:119], a[104:105], a[24:25], v[116:119]// 000000003DD8: D3F30074 1DD23168
	s_add_u32 s20, s57, s20                                    // 000000003DE0: 80141439
	s_addc_u32 s21, 0, s21                                     // 000000003DE4: 82151580
	v_mfma_f32_16x16x32_fp8_fp8 v[116:119], a[106:107], a[26:27], v[116:119]// 000000003DE8: D3F30074 1DD2356A
	s_add_u32 s84, s83, s84                                    // 000000003DF0: 80545453
	s_addc_u32 s85, 0, s85                                     // 000000003DF4: 82555580
	v_mfma_f32_16x16x32_fp8_fp8 v[116:119], a[108:109], a[28:29], v[116:119]// 000000003DF8: D3F30074 1DD2396C
	v_mfma_f32_16x16x32_fp8_fp8 v[116:119], a[110:111], a[30:31], v[116:119]// 000000003E00: D3F30074 1DD23D6E
	s_addk_i32 s80, 0x80                                       // 000000003E08: B7500080
	s_cmp_lt_i32 s80, s81                                      // 000000003E0C: BF045150
	s_cbranch_scc0 label_078B                                  // 000000003E10: BF840286
	s_waitcnt vmcnt(12) lgkmcnt(0)                             // 000000003E14: BF8C007C
	v_mfma_f32_16x16x32_fp8_fp8 v[56:59], a[64:65], a[32:33], v[56:59]// 000000003E18: D3F30038 1CE24140
	v_mfma_f32_16x16x32_fp8_fp8 v[56:59], a[66:67], a[34:35], v[56:59]// 000000003E20: D3F30038 1CE24542
	buffer_load_dwordx4 a[96:99], v54, s[24:27], 0 offen       // 000000003E28: E05C1000 80866036
	v_mfma_f32_16x16x32_fp8_fp8 v[56:59], a[68:69], a[36:37], v[56:59]// 000000003E30: D3F30038 1CE24944
	v_mfma_f32_16x16x32_fp8_fp8 v[56:59], a[70:71], a[38:39], v[56:59]// 000000003E38: D3F30038 1CE24D46
	v_mfma_f32_16x16x32_fp8_fp8 v[72:75], a[72:73], a[32:33], v[72:75]// 000000003E40: D3F30048 1D224148
	v_mfma_f32_16x16x32_fp8_fp8 v[72:75], a[74:75], a[34:35], v[72:75]// 000000003E48: D3F30048 1D22454A
	buffer_load_dwordx4 a[100:103], v54, s[24:27], 0 offen offset:1024// 000000003E50: E05C1400 80866436
	v_mfma_f32_16x16x32_fp8_fp8 v[72:75], a[76:77], a[36:37], v[72:75]// 000000003E58: D3F30048 1D22494C
	v_mfma_f32_16x16x32_fp8_fp8 v[72:75], a[78:79], a[38:39], v[72:75]// 000000003E60: D3F30048 1D224D4E
	v_mfma_f32_16x16x32_fp8_fp8 v[60:63], a[64:65], a[40:41], v[60:63]// 000000003E68: D3F3003C 1CF25140
	v_mfma_f32_16x16x32_fp8_fp8 v[60:63], a[66:67], a[42:43], v[60:63]// 000000003E70: D3F3003C 1CF25542
	buffer_load_dwordx4 a[104:107], v55, s[24:27], 0 offen     // 000000003E78: E05C1000 80866837
	v_mfma_f32_16x16x32_fp8_fp8 v[60:63], a[68:69], a[44:45], v[60:63]// 000000003E80: D3F3003C 1CF25944
	v_mfma_f32_16x16x32_fp8_fp8 v[60:63], a[70:71], a[46:47], v[60:63]// 000000003E88: D3F3003C 1CF25D46
	v_mfma_f32_16x16x32_fp8_fp8 v[76:79], a[72:73], a[40:41], v[76:79]// 000000003E90: D3F3004C 1D325148
	v_mfma_f32_16x16x32_fp8_fp8 v[76:79], a[74:75], a[42:43], v[76:79]// 000000003E98: D3F3004C 1D32554A
	buffer_load_dwordx4 a[108:111], v55, s[24:27], 0 offen offset:1024// 000000003EA0: E05C1400 80866C37
	buffer_load_dword v46, s[20:23], 0 offen lds               // 000000003EA8: E0511000 8005002E
	s_add_u32 m0, 0x100, s50                                   // 000000003EB0: 807C32FF 00000100
	v_mfma_f32_16x16x32_fp8_fp8 v[76:79], a[76:77], a[44:45], v[76:79]// 000000003EB8: D3F3004C 1D32594C
	v_mfma_f32_16x16x32_fp8_fp8 v[76:79], a[78:79], a[46:47], v[76:79]// 000000003EC0: D3F3004C 1D325D4E
	buffer_load_dword v47, s[20:23], 0 offen lds               // 000000003EC8: E0511000 8005002F
	s_add_u32 m0, 0x200, s50                                   // 000000003ED0: 807C32FF 00000200
	v_mfma_f32_16x16x32_fp8_fp8 v[64:67], a[64:65], a[48:49], v[64:67]// 000000003ED8: D3F30040 1D026140
	v_mfma_f32_16x16x32_fp8_fp8 v[64:67], a[66:67], a[50:51], v[64:67]// 000000003EE0: D3F30040 1D026542
	buffer_load_dword v48, s[20:23], 0 offen lds               // 000000003EE8: E0511000 80050030
	s_add_u32 m0, 0x300, s50                                   // 000000003EF0: 807C32FF 00000300
	v_mfma_f32_16x16x32_fp8_fp8 v[64:67], a[68:69], a[52:53], v[64:67]// 000000003EF8: D3F30040 1D026944
	v_mfma_f32_16x16x32_fp8_fp8 v[64:67], a[70:71], a[54:55], v[64:67]// 000000003F00: D3F30040 1D026D46
	buffer_load_dword v49, s[20:23], 0 offen lds               // 000000003F08: E0511000 80050031
	s_add_u32 m0, 0x400, s50                                   // 000000003F10: 807C32FF 00000400
	v_mfma_f32_16x16x32_fp8_fp8 v[80:83], a[72:73], a[48:49], v[80:83]// 000000003F18: D3F30050 1D426148
	v_mfma_f32_16x16x32_fp8_fp8 v[80:83], a[74:75], a[50:51], v[80:83]// 000000003F20: D3F30050 1D42654A
	buffer_load_dword v50, s[20:23], 0 offen lds               // 000000003F28: E0511000 80050032
	s_add_u32 m0, 0x500, s50                                   // 000000003F30: 807C32FF 00000500
	v_mfma_f32_16x16x32_fp8_fp8 v[80:83], a[76:77], a[52:53], v[80:83]// 000000003F38: D3F30050 1D42694C
	v_mfma_f32_16x16x32_fp8_fp8 v[80:83], a[78:79], a[54:55], v[80:83]// 000000003F40: D3F30050 1D426D4E
	buffer_load_dword v51, s[20:23], 0 offen lds               // 000000003F48: E0511000 80050033
	s_add_u32 m0, 0x600, s50                                   // 000000003F50: 807C32FF 00000600
	v_mfma_f32_16x16x32_fp8_fp8 v[68:71], a[64:65], a[56:57], v[68:71]// 000000003F58: D3F30044 1D127140
	v_mfma_f32_16x16x32_fp8_fp8 v[68:71], a[66:67], a[58:59], v[68:71]// 000000003F60: D3F30044 1D127542
	buffer_load_dword v52, s[20:23], 0 offen lds               // 000000003F68: E0511000 80050034
	s_add_u32 m0, 0x700, s50                                   // 000000003F70: 807C32FF 00000700
	v_mfma_f32_16x16x32_fp8_fp8 v[68:71], a[68:69], a[60:61], v[68:71]// 000000003F78: D3F30044 1D127944
	v_mfma_f32_16x16x32_fp8_fp8 v[68:71], a[70:71], a[62:63], v[68:71]// 000000003F80: D3F30044 1D127D46
	buffer_load_dword v53, s[20:23], 0 offen lds               // 000000003F88: E0511000 80050035
	s_add_u32 m0, 0, s48                                       // 000000003F90: 807C3080
	v_mfma_f32_16x16x32_fp8_fp8 v[84:87], a[72:73], a[56:57], v[84:87]// 000000003F94: D3F30054 1D527148
	v_mfma_f32_16x16x32_fp8_fp8 v[84:87], a[74:75], a[58:59], v[84:87]// 000000003F9C: D3F30054 1D52754A
	v_mfma_f32_16x16x32_fp8_fp8 v[84:87], a[76:77], a[60:61], v[84:87]// 000000003FA4: D3F30054 1D52794C
	v_mfma_f32_16x16x32_fp8_fp8 v[84:87], a[78:79], a[62:63], v[84:87]// 000000003FAC: D3F30054 1D527D4E
	s_waitcnt vmcnt(12)                                        // 000000003FB4: BF8C0F7C
	s_barrier                                                  // 000000003FB8: BF8A0000
	v_mfma_f32_16x16x32_fp8_fp8 v[88:91], a[80:81], a[32:33], v[88:91]// 000000003FBC: D3F30058 1D624150
	v_mfma_f32_16x16x32_fp8_fp8 v[88:91], a[82:83], a[34:35], v[88:91]// 000000003FC4: D3F30058 1D624552
	buffer_load_dwordx4 a[64:67], v54, s[84:87], 0 offen       // 000000003FCC: E05C1000 80954036
	v_mfma_f32_16x16x32_fp8_fp8 v[88:91], a[84:85], a[36:37], v[88:91]// 000000003FD4: D3F30058 1D624954
	v_mfma_f32_16x16x32_fp8_fp8 v[88:91], a[86:87], a[38:39], v[88:91]// 000000003FDC: D3F30058 1D624D56
	ds_read_b128 a[0:3], v2 offset:8320                        // 000000003FE4: DBFE2080 00000002
	ds_read_b128 a[4:7], v2 offset:8384                        // 000000003FEC: DBFE20C0 04000002
	v_mfma_f32_16x16x32_fp8_fp8 v[104:107], a[88:89], a[32:33], v[104:107]// 000000003FF4: D3F30068 1DA24158
	v_mfma_f32_16x16x32_fp8_fp8 v[104:107], a[90:91], a[34:35], v[104:107]// 000000003FFC: D3F30068 1DA2455A
	buffer_load_dwordx4 a[68:71], v54, s[84:87], 0 offen offset:1024// 000000004004: E05C1400 80954436
	v_mfma_f32_16x16x32_fp8_fp8 v[104:107], a[92:93], a[36:37], v[104:107]// 00000000400C: D3F30068 1DA2495C
	v_mfma_f32_16x16x32_fp8_fp8 v[104:107], a[94:95], a[38:39], v[104:107]// 000000004014: D3F30068 1DA24D5E
	ds_read_b128 a[8:11], v2 offset:8832                       // 00000000401C: DBFE2280 08000002
	ds_read_b128 a[12:15], v2 offset:8896                      // 000000004024: DBFE22C0 0C000002
	v_mfma_f32_16x16x32_fp8_fp8 v[92:95], a[80:81], a[40:41], v[92:95]// 00000000402C: D3F3005C 1D725150
	v_mfma_f32_16x16x32_fp8_fp8 v[92:95], a[82:83], a[42:43], v[92:95]// 000000004034: D3F3005C 1D725552
	buffer_load_dwordx4 a[72:75], v55, s[84:87], 0 offen       // 00000000403C: E05C1000 80954837
	v_mfma_f32_16x16x32_fp8_fp8 v[92:95], a[84:85], a[44:45], v[92:95]// 000000004044: D3F3005C 1D725954
	v_mfma_f32_16x16x32_fp8_fp8 v[92:95], a[86:87], a[46:47], v[92:95]// 00000000404C: D3F3005C 1D725D56
	ds_read_b128 a[16:19], v2 offset:9344                      // 000000004054: DBFE2480 10000002
	ds_read_b128 a[20:23], v2 offset:9408                      // 00000000405C: DBFE24C0 14000002
	v_mfma_f32_16x16x32_fp8_fp8 v[108:111], a[88:89], a[40:41], v[108:111]// 000000004064: D3F3006C 1DB25158
	v_mfma_f32_16x16x32_fp8_fp8 v[108:111], a[90:91], a[42:43], v[108:111]// 00000000406C: D3F3006C 1DB2555A
	buffer_load_dwordx4 a[76:79], v55, s[84:87], 0 offen offset:1024// 000000004074: E05C1400 80954C37
	v_mfma_f32_16x16x32_fp8_fp8 v[108:111], a[92:93], a[44:45], v[108:111]// 00000000407C: D3F3006C 1DB2595C
	v_mfma_f32_16x16x32_fp8_fp8 v[108:111], a[94:95], a[46:47], v[108:111]// 000000004084: D3F3006C 1DB25D5E
	ds_read_b128 a[24:27], v2 offset:9856                      // 00000000408C: DBFE2680 18000002
	ds_read_b128 a[28:31], v2 offset:9920                      // 000000004094: DBFE26C0 1C000002
	v_mfma_f32_16x16x32_fp8_fp8 v[96:99], a[80:81], a[48:49], v[96:99]// 00000000409C: D3F30060 1D826150
	v_mfma_f32_16x16x32_fp8_fp8 v[96:99], a[82:83], a[50:51], v[96:99]// 0000000040A4: D3F30060 1D826552
	v_mfma_f32_16x16x32_fp8_fp8 v[96:99], a[84:85], a[52:53], v[96:99]// 0000000040AC: D3F30060 1D826954
	v_mfma_f32_16x16x32_fp8_fp8 v[96:99], a[86:87], a[54:55], v[96:99]// 0000000040B4: D3F30060 1D826D56
	v_mfma_f32_16x16x32_fp8_fp8 v[112:115], a[88:89], a[48:49], v[112:115]// 0000000040BC: D3F30070 1DC26158
	v_mfma_f32_16x16x32_fp8_fp8 v[112:115], a[90:91], a[50:51], v[112:115]// 0000000040C4: D3F30070 1DC2655A
	v_mfma_f32_16x16x32_fp8_fp8 v[112:115], a[92:93], a[52:53], v[112:115]// 0000000040CC: D3F30070 1DC2695C
	v_mfma_f32_16x16x32_fp8_fp8 v[112:115], a[94:95], a[54:55], v[112:115]// 0000000040D4: D3F30070 1DC26D5E
	v_mfma_f32_16x16x32_fp8_fp8 v[100:103], a[80:81], a[56:57], v[100:103]// 0000000040DC: D3F30064 1D927150
	s_add_u32 s60, 0x180, s80                                  // 0000000040E4: 803C50FF 00000180
	s_cmp_lt_u32 s60, s81                                      // 0000000040EC: BF0A513C
	s_cselect_b32 s57, s57, 0                                  // 0000000040F0: 85398039
	v_mfma_f32_16x16x32_fp8_fp8 v[100:103], a[82:83], a[58:59], v[100:103]// 0000000040F4: D3F30064 1D927552
	s_add_u32 s60, 0x100, s80                                  // 0000000040FC: 803C50FF 00000100
	s_cmp_lt_u32 s60, s81                                      // 000000004104: BF0A513C
	s_cselect_b32 s58, s58, 0                                  // 000000004108: 853A803A
	v_mfma_f32_16x16x32_fp8_fp8 v[100:103], a[84:85], a[60:61], v[100:103]// 00000000410C: D3F30064 1D927954
	s_add_u32 s60, 0x100, s80                                  // 000000004114: 803C50FF 00000100
	s_cmp_lt_u32 s60, s81                                      // 00000000411C: BF0A513C
	s_cselect_b32 s83, s83, 0                                  // 000000004120: 85538053
	v_mfma_f32_16x16x32_fp8_fp8 v[100:103], a[86:87], a[62:63], v[100:103]// 000000004124: D3F30064 1D927D56
	s_add_u32 s24, s58, s24                                    // 00000000412C: 8018183A
	s_addc_u32 s25, 0, s25                                     // 000000004130: 82191980
	v_mfma_f32_16x16x32_fp8_fp8 v[116:119], a[88:89], a[56:57], v[116:119]// 000000004134: D3F30074 1DD27158
	s_add_u32 s20, s57, s20                                    // 00000000413C: 80141439
	s_addc_u32 s21, 0, s21                                     // 000000004140: 82151580
	v_mfma_f32_16x16x32_fp8_fp8 v[116:119], a[90:91], a[58:59], v[116:119]// 000000004144: D3F30074 1DD2755A
	s_add_u32 s84, s83, s84                                    // 00000000414C: 80545453
	s_addc_u32 s85, 0, s85                                     // 000000004150: 82555580
	v_mfma_f32_16x16x32_fp8_fp8 v[116:119], a[92:93], a[60:61], v[116:119]// 000000004154: D3F30074 1DD2795C
	v_mfma_f32_16x16x32_fp8_fp8 v[116:119], a[94:95], a[62:63], v[116:119]// 00000000415C: D3F30074 1DD27D5E
	s_addk_i32 s80, 0x80                                       // 000000004164: B7500080
	s_cmp_lt_i32 s80, s81                                      // 000000004168: BF045150
	s_cbranch_scc0 label_078B                                  // 00000000416C: BF8401AF
	s_waitcnt vmcnt(12) lgkmcnt(0)                             // 000000004170: BF8C007C
	v_mfma_f32_16x16x32_fp8_fp8 v[56:59], a[96:97], a[0:1], v[56:59]// 000000004174: D3F30038 1CE20160
	v_mfma_f32_16x16x32_fp8_fp8 v[56:59], a[98:99], a[2:3], v[56:59]// 00000000417C: D3F30038 1CE20562
	buffer_load_dwordx4 a[80:83], v54, s[24:27], 0 offen       // 000000004184: E05C1000 80865036
	v_mfma_f32_16x16x32_fp8_fp8 v[56:59], a[100:101], a[4:5], v[56:59]// 00000000418C: D3F30038 1CE20964
	v_mfma_f32_16x16x32_fp8_fp8 v[56:59], a[102:103], a[6:7], v[56:59]// 000000004194: D3F30038 1CE20D66
	v_mfma_f32_16x16x32_fp8_fp8 v[72:75], a[104:105], a[0:1], v[72:75]// 00000000419C: D3F30048 1D220168
	v_mfma_f32_16x16x32_fp8_fp8 v[72:75], a[106:107], a[2:3], v[72:75]// 0000000041A4: D3F30048 1D22056A
	buffer_load_dwordx4 a[84:87], v54, s[24:27], 0 offen offset:1024// 0000000041AC: E05C1400 80865436
	v_mfma_f32_16x16x32_fp8_fp8 v[72:75], a[108:109], a[4:5], v[72:75]// 0000000041B4: D3F30048 1D22096C
	v_mfma_f32_16x16x32_fp8_fp8 v[72:75], a[110:111], a[6:7], v[72:75]// 0000000041BC: D3F30048 1D220D6E
	v_mfma_f32_16x16x32_fp8_fp8 v[60:63], a[96:97], a[8:9], v[60:63]// 0000000041C4: D3F3003C 1CF21160
	v_mfma_f32_16x16x32_fp8_fp8 v[60:63], a[98:99], a[10:11], v[60:63]// 0000000041CC: D3F3003C 1CF21562
	buffer_load_dwordx4 a[88:91], v55, s[24:27], 0 offen       // 0000000041D4: E05C1000 80865837
	v_mfma_f32_16x16x32_fp8_fp8 v[60:63], a[100:101], a[12:13], v[60:63]// 0000000041DC: D3F3003C 1CF21964
	v_mfma_f32_16x16x32_fp8_fp8 v[60:63], a[102:103], a[14:15], v[60:63]// 0000000041E4: D3F3003C 1CF21D66
	v_mfma_f32_16x16x32_fp8_fp8 v[76:79], a[104:105], a[8:9], v[76:79]// 0000000041EC: D3F3004C 1D321168
	v_mfma_f32_16x16x32_fp8_fp8 v[76:79], a[106:107], a[10:11], v[76:79]// 0000000041F4: D3F3004C 1D32156A
	buffer_load_dwordx4 a[92:95], v55, s[24:27], 0 offen offset:1024// 0000000041FC: E05C1400 80865C37
	buffer_load_dword v46, s[20:23], 0 offen lds               // 000000004204: E0511000 8005002E
	s_add_u32 m0, 0x100, s48                                   // 00000000420C: 807C30FF 00000100
	v_mfma_f32_16x16x32_fp8_fp8 v[76:79], a[108:109], a[12:13], v[76:79]// 000000004214: D3F3004C 1D32196C
	v_mfma_f32_16x16x32_fp8_fp8 v[76:79], a[110:111], a[14:15], v[76:79]// 00000000421C: D3F3004C 1D321D6E
	buffer_load_dword v47, s[20:23], 0 offen lds               // 000000004224: E0511000 8005002F
	s_add_u32 m0, 0x200, s48                                   // 00000000422C: 807C30FF 00000200
	v_mfma_f32_16x16x32_fp8_fp8 v[64:67], a[96:97], a[16:17], v[64:67]// 000000004234: D3F30040 1D022160
	v_mfma_f32_16x16x32_fp8_fp8 v[64:67], a[98:99], a[18:19], v[64:67]// 00000000423C: D3F30040 1D022562
	buffer_load_dword v48, s[20:23], 0 offen lds               // 000000004244: E0511000 80050030
	s_add_u32 m0, 0x300, s48                                   // 00000000424C: 807C30FF 00000300
	v_mfma_f32_16x16x32_fp8_fp8 v[64:67], a[100:101], a[20:21], v[64:67]// 000000004254: D3F30040 1D022964
	v_mfma_f32_16x16x32_fp8_fp8 v[64:67], a[102:103], a[22:23], v[64:67]// 00000000425C: D3F30040 1D022D66
	buffer_load_dword v49, s[20:23], 0 offen lds               // 000000004264: E0511000 80050031
	s_add_u32 m0, 0x400, s48                                   // 00000000426C: 807C30FF 00000400
	v_mfma_f32_16x16x32_fp8_fp8 v[80:83], a[104:105], a[16:17], v[80:83]// 000000004274: D3F30050 1D422168
	v_mfma_f32_16x16x32_fp8_fp8 v[80:83], a[106:107], a[18:19], v[80:83]// 00000000427C: D3F30050 1D42256A
	buffer_load_dword v50, s[20:23], 0 offen lds               // 000000004284: E0511000 80050032
	s_add_u32 m0, 0x500, s48                                   // 00000000428C: 807C30FF 00000500
	v_mfma_f32_16x16x32_fp8_fp8 v[80:83], a[108:109], a[20:21], v[80:83]// 000000004294: D3F30050 1D42296C
	v_mfma_f32_16x16x32_fp8_fp8 v[80:83], a[110:111], a[22:23], v[80:83]// 00000000429C: D3F30050 1D422D6E
	buffer_load_dword v51, s[20:23], 0 offen lds               // 0000000042A4: E0511000 80050033
	s_add_u32 m0, 0x600, s48                                   // 0000000042AC: 807C30FF 00000600
	v_mfma_f32_16x16x32_fp8_fp8 v[68:71], a[96:97], a[24:25], v[68:71]// 0000000042B4: D3F30044 1D123160
	v_mfma_f32_16x16x32_fp8_fp8 v[68:71], a[98:99], a[26:27], v[68:71]// 0000000042BC: D3F30044 1D123562
	buffer_load_dword v52, s[20:23], 0 offen lds               // 0000000042C4: E0511000 80050034
	s_add_u32 m0, 0x700, s48                                   // 0000000042CC: 807C30FF 00000700
	v_mfma_f32_16x16x32_fp8_fp8 v[68:71], a[100:101], a[28:29], v[68:71]// 0000000042D4: D3F30044 1D123964
	v_mfma_f32_16x16x32_fp8_fp8 v[68:71], a[102:103], a[30:31], v[68:71]// 0000000042DC: D3F30044 1D123D66
	buffer_load_dword v53, s[20:23], 0 offen lds               // 0000000042E4: E0511000 80050035
	s_add_u32 m0, 0, s49                                       // 0000000042EC: 807C3180
	v_mfma_f32_16x16x32_fp8_fp8 v[84:87], a[104:105], a[24:25], v[84:87]// 0000000042F0: D3F30054 1D523168
	v_mfma_f32_16x16x32_fp8_fp8 v[84:87], a[106:107], a[26:27], v[84:87]// 0000000042F8: D3F30054 1D52356A
	v_mfma_f32_16x16x32_fp8_fp8 v[84:87], a[108:109], a[28:29], v[84:87]// 000000004300: D3F30054 1D52396C
	v_mfma_f32_16x16x32_fp8_fp8 v[84:87], a[110:111], a[30:31], v[84:87]// 000000004308: D3F30054 1D523D6E
	s_waitcnt vmcnt(12)                                        // 000000004310: BF8C0F7C
	s_barrier                                                  // 000000004314: BF8A0000
	v_mfma_f32_16x16x32_fp8_fp8 v[88:91], a[64:65], a[0:1], v[88:91]// 000000004318: D3F30058 1D620140
	v_mfma_f32_16x16x32_fp8_fp8 v[88:91], a[66:67], a[2:3], v[88:91]// 000000004320: D3F30058 1D620542
	buffer_load_dwordx4 a[96:99], v54, s[84:87], 0 offen       // 000000004328: E05C1000 80956036
	v_mfma_f32_16x16x32_fp8_fp8 v[88:91], a[68:69], a[4:5], v[88:91]// 000000004330: D3F30058 1D620944
	v_mfma_f32_16x16x32_fp8_fp8 v[88:91], a[70:71], a[6:7], v[88:91]// 000000004338: D3F30058 1D620D46
	ds_read_b128 a[32:35], v2 offset:16640                     // 000000004340: DBFE4100 20000002
	ds_read_b128 a[36:39], v2 offset:16704                     // 000000004348: DBFE4140 24000002
	v_mfma_f32_16x16x32_fp8_fp8 v[104:107], a[72:73], a[0:1], v[104:107]// 000000004350: D3F30068 1DA20148
	v_mfma_f32_16x16x32_fp8_fp8 v[104:107], a[74:75], a[2:3], v[104:107]// 000000004358: D3F30068 1DA2054A
	buffer_load_dwordx4 a[100:103], v54, s[84:87], 0 offen offset:1024// 000000004360: E05C1400 80956436
	v_mfma_f32_16x16x32_fp8_fp8 v[104:107], a[76:77], a[4:5], v[104:107]// 000000004368: D3F30068 1DA2094C
	v_mfma_f32_16x16x32_fp8_fp8 v[104:107], a[78:79], a[6:7], v[104:107]// 000000004370: D3F30068 1DA20D4E
	ds_read_b128 a[40:43], v2 offset:17152                     // 000000004378: DBFE4300 28000002
	ds_read_b128 a[44:47], v2 offset:17216                     // 000000004380: DBFE4340 2C000002
	v_mfma_f32_16x16x32_fp8_fp8 v[92:95], a[64:65], a[8:9], v[92:95]// 000000004388: D3F3005C 1D721140
	v_mfma_f32_16x16x32_fp8_fp8 v[92:95], a[66:67], a[10:11], v[92:95]// 000000004390: D3F3005C 1D721542
	buffer_load_dwordx4 a[104:107], v55, s[84:87], 0 offen     // 000000004398: E05C1000 80956837
	v_mfma_f32_16x16x32_fp8_fp8 v[92:95], a[68:69], a[12:13], v[92:95]// 0000000043A0: D3F3005C 1D721944
	v_mfma_f32_16x16x32_fp8_fp8 v[92:95], a[70:71], a[14:15], v[92:95]// 0000000043A8: D3F3005C 1D721D46
	ds_read_b128 a[48:51], v2 offset:17664                     // 0000000043B0: DBFE4500 30000002
	ds_read_b128 a[52:55], v2 offset:17728                     // 0000000043B8: DBFE4540 34000002
	v_mfma_f32_16x16x32_fp8_fp8 v[108:111], a[72:73], a[8:9], v[108:111]// 0000000043C0: D3F3006C 1DB21148
	v_mfma_f32_16x16x32_fp8_fp8 v[108:111], a[74:75], a[10:11], v[108:111]// 0000000043C8: D3F3006C 1DB2154A
	buffer_load_dwordx4 a[108:111], v55, s[84:87], 0 offen offset:1024// 0000000043D0: E05C1400 80956C37
	v_mfma_f32_16x16x32_fp8_fp8 v[108:111], a[76:77], a[12:13], v[108:111]// 0000000043D8: D3F3006C 1DB2194C
	v_mfma_f32_16x16x32_fp8_fp8 v[108:111], a[78:79], a[14:15], v[108:111]// 0000000043E0: D3F3006C 1DB21D4E
	ds_read_b128 a[56:59], v2 offset:18176                     // 0000000043E8: DBFE4700 38000002
	ds_read_b128 a[60:63], v2 offset:18240                     // 0000000043F0: DBFE4740 3C000002
	v_mfma_f32_16x16x32_fp8_fp8 v[96:99], a[64:65], a[16:17], v[96:99]// 0000000043F8: D3F30060 1D822140
	v_mfma_f32_16x16x32_fp8_fp8 v[96:99], a[66:67], a[18:19], v[96:99]// 000000004400: D3F30060 1D822542
	v_mfma_f32_16x16x32_fp8_fp8 v[96:99], a[68:69], a[20:21], v[96:99]// 000000004408: D3F30060 1D822944
	v_mfma_f32_16x16x32_fp8_fp8 v[96:99], a[70:71], a[22:23], v[96:99]// 000000004410: D3F30060 1D822D46
	v_mfma_f32_16x16x32_fp8_fp8 v[112:115], a[72:73], a[16:17], v[112:115]// 000000004418: D3F30070 1DC22148
	v_mfma_f32_16x16x32_fp8_fp8 v[112:115], a[74:75], a[18:19], v[112:115]// 000000004420: D3F30070 1DC2254A
	v_mfma_f32_16x16x32_fp8_fp8 v[112:115], a[76:77], a[20:21], v[112:115]// 000000004428: D3F30070 1DC2294C
	v_mfma_f32_16x16x32_fp8_fp8 v[112:115], a[78:79], a[22:23], v[112:115]// 000000004430: D3F30070 1DC22D4E
	v_mfma_f32_16x16x32_fp8_fp8 v[100:103], a[64:65], a[24:25], v[100:103]// 000000004438: D3F30064 1D923140
	s_add_u32 s60, 0x180, s80                                  // 000000004440: 803C50FF 00000180
	s_cmp_lt_u32 s60, s81                                      // 000000004448: BF0A513C
	s_cselect_b32 s57, s57, 0                                  // 00000000444C: 85398039
	v_mfma_f32_16x16x32_fp8_fp8 v[100:103], a[66:67], a[26:27], v[100:103]// 000000004450: D3F30064 1D923542
	s_add_u32 s60, 0x100, s80                                  // 000000004458: 803C50FF 00000100
	s_cmp_lt_u32 s60, s81                                      // 000000004460: BF0A513C
	s_cselect_b32 s58, s58, 0                                  // 000000004464: 853A803A
	v_mfma_f32_16x16x32_fp8_fp8 v[100:103], a[68:69], a[28:29], v[100:103]// 000000004468: D3F30064 1D923944
	s_add_u32 s60, 0x100, s80                                  // 000000004470: 803C50FF 00000100
	s_cmp_lt_u32 s60, s81                                      // 000000004478: BF0A513C
	s_cselect_b32 s83, s83, 0                                  // 00000000447C: 85538053
	v_mfma_f32_16x16x32_fp8_fp8 v[100:103], a[70:71], a[30:31], v[100:103]// 000000004480: D3F30064 1D923D46
	s_add_u32 s24, s58, s24                                    // 000000004488: 8018183A
	s_addc_u32 s25, 0, s25                                     // 00000000448C: 82191980
	v_mfma_f32_16x16x32_fp8_fp8 v[116:119], a[72:73], a[24:25], v[116:119]// 000000004490: D3F30074 1DD23148
	s_add_u32 s20, s57, s20                                    // 000000004498: 80141439
	s_addc_u32 s21, 0, s21                                     // 00000000449C: 82151580
	v_mfma_f32_16x16x32_fp8_fp8 v[116:119], a[74:75], a[26:27], v[116:119]// 0000000044A0: D3F30074 1DD2354A
	s_add_u32 s84, s83, s84                                    // 0000000044A8: 80545453
	s_addc_u32 s85, 0, s85                                     // 0000000044AC: 82555580
	v_mfma_f32_16x16x32_fp8_fp8 v[116:119], a[76:77], a[28:29], v[116:119]// 0000000044B0: D3F30074 1DD2394C
	v_mfma_f32_16x16x32_fp8_fp8 v[116:119], a[78:79], a[30:31], v[116:119]// 0000000044B8: D3F30074 1DD23D4E
	s_addk_i32 s80, 0x80                                       // 0000000044C0: B7500080
	s_cmp_lt_i32 s80, s81                                      // 0000000044C4: BF045150
	s_cbranch_scc0 label_078B                                  // 0000000044C8: BF8400D8
	s_waitcnt vmcnt(12) lgkmcnt(0)                             // 0000000044CC: BF8C007C
	v_mfma_f32_16x16x32_fp8_fp8 v[56:59], a[80:81], a[32:33], v[56:59]// 0000000044D0: D3F30038 1CE24150
	v_mfma_f32_16x16x32_fp8_fp8 v[56:59], a[82:83], a[34:35], v[56:59]// 0000000044D8: D3F30038 1CE24552
	buffer_load_dwordx4 a[64:67], v54, s[24:27], 0 offen       // 0000000044E0: E05C1000 80864036
	v_mfma_f32_16x16x32_fp8_fp8 v[56:59], a[84:85], a[36:37], v[56:59]// 0000000044E8: D3F30038 1CE24954
	v_mfma_f32_16x16x32_fp8_fp8 v[56:59], a[86:87], a[38:39], v[56:59]// 0000000044F0: D3F30038 1CE24D56
	v_mfma_f32_16x16x32_fp8_fp8 v[72:75], a[88:89], a[32:33], v[72:75]// 0000000044F8: D3F30048 1D224158
	v_mfma_f32_16x16x32_fp8_fp8 v[72:75], a[90:91], a[34:35], v[72:75]// 000000004500: D3F30048 1D22455A
	buffer_load_dwordx4 a[68:71], v54, s[24:27], 0 offen offset:1024// 000000004508: E05C1400 80864436
	v_mfma_f32_16x16x32_fp8_fp8 v[72:75], a[92:93], a[36:37], v[72:75]// 000000004510: D3F30048 1D22495C
	v_mfma_f32_16x16x32_fp8_fp8 v[72:75], a[94:95], a[38:39], v[72:75]// 000000004518: D3F30048 1D224D5E
	v_mfma_f32_16x16x32_fp8_fp8 v[60:63], a[80:81], a[40:41], v[60:63]// 000000004520: D3F3003C 1CF25150
	v_mfma_f32_16x16x32_fp8_fp8 v[60:63], a[82:83], a[42:43], v[60:63]// 000000004528: D3F3003C 1CF25552
	buffer_load_dwordx4 a[72:75], v55, s[24:27], 0 offen       // 000000004530: E05C1000 80864837
	v_mfma_f32_16x16x32_fp8_fp8 v[60:63], a[84:85], a[44:45], v[60:63]// 000000004538: D3F3003C 1CF25954
	v_mfma_f32_16x16x32_fp8_fp8 v[60:63], a[86:87], a[46:47], v[60:63]// 000000004540: D3F3003C 1CF25D56
	v_mfma_f32_16x16x32_fp8_fp8 v[76:79], a[88:89], a[40:41], v[76:79]// 000000004548: D3F3004C 1D325158
	v_mfma_f32_16x16x32_fp8_fp8 v[76:79], a[90:91], a[42:43], v[76:79]// 000000004550: D3F3004C 1D32555A
	buffer_load_dwordx4 a[76:79], v55, s[24:27], 0 offen offset:1024// 000000004558: E05C1400 80864C37
	buffer_load_dword v46, s[20:23], 0 offen lds               // 000000004560: E0511000 8005002E
	s_add_u32 m0, 0x100, s49                                   // 000000004568: 807C31FF 00000100
	v_mfma_f32_16x16x32_fp8_fp8 v[76:79], a[92:93], a[44:45], v[76:79]// 000000004570: D3F3004C 1D32595C
	v_mfma_f32_16x16x32_fp8_fp8 v[76:79], a[94:95], a[46:47], v[76:79]// 000000004578: D3F3004C 1D325D5E
	buffer_load_dword v47, s[20:23], 0 offen lds               // 000000004580: E0511000 8005002F
	s_add_u32 m0, 0x200, s49                                   // 000000004588: 807C31FF 00000200
	v_mfma_f32_16x16x32_fp8_fp8 v[64:67], a[80:81], a[48:49], v[64:67]// 000000004590: D3F30040 1D026150
	v_mfma_f32_16x16x32_fp8_fp8 v[64:67], a[82:83], a[50:51], v[64:67]// 000000004598: D3F30040 1D026552
	buffer_load_dword v48, s[20:23], 0 offen lds               // 0000000045A0: E0511000 80050030
	s_add_u32 m0, 0x300, s49                                   // 0000000045A8: 807C31FF 00000300
	v_mfma_f32_16x16x32_fp8_fp8 v[64:67], a[84:85], a[52:53], v[64:67]// 0000000045B0: D3F30040 1D026954
	v_mfma_f32_16x16x32_fp8_fp8 v[64:67], a[86:87], a[54:55], v[64:67]// 0000000045B8: D3F30040 1D026D56
	buffer_load_dword v49, s[20:23], 0 offen lds               // 0000000045C0: E0511000 80050031
	s_add_u32 m0, 0x400, s49                                   // 0000000045C8: 807C31FF 00000400
	v_mfma_f32_16x16x32_fp8_fp8 v[80:83], a[88:89], a[48:49], v[80:83]// 0000000045D0: D3F30050 1D426158
	v_mfma_f32_16x16x32_fp8_fp8 v[80:83], a[90:91], a[50:51], v[80:83]// 0000000045D8: D3F30050 1D42655A
	buffer_load_dword v50, s[20:23], 0 offen lds               // 0000000045E0: E0511000 80050032
	s_add_u32 m0, 0x500, s49                                   // 0000000045E8: 807C31FF 00000500
	v_mfma_f32_16x16x32_fp8_fp8 v[80:83], a[92:93], a[52:53], v[80:83]// 0000000045F0: D3F30050 1D42695C
	v_mfma_f32_16x16x32_fp8_fp8 v[80:83], a[94:95], a[54:55], v[80:83]// 0000000045F8: D3F30050 1D426D5E
	buffer_load_dword v51, s[20:23], 0 offen lds               // 000000004600: E0511000 80050033
	s_add_u32 m0, 0x600, s49                                   // 000000004608: 807C31FF 00000600
	v_mfma_f32_16x16x32_fp8_fp8 v[68:71], a[80:81], a[56:57], v[68:71]// 000000004610: D3F30044 1D127150
	v_mfma_f32_16x16x32_fp8_fp8 v[68:71], a[82:83], a[58:59], v[68:71]// 000000004618: D3F30044 1D127552
	buffer_load_dword v52, s[20:23], 0 offen lds               // 000000004620: E0511000 80050034
	s_add_u32 m0, 0x700, s49                                   // 000000004628: 807C31FF 00000700
	v_mfma_f32_16x16x32_fp8_fp8 v[68:71], a[84:85], a[60:61], v[68:71]// 000000004630: D3F30044 1D127954
	v_mfma_f32_16x16x32_fp8_fp8 v[68:71], a[86:87], a[62:63], v[68:71]// 000000004638: D3F30044 1D127D56
	buffer_load_dword v53, s[20:23], 0 offen lds               // 000000004640: E0511000 80050035
	s_add_u32 m0, 0, s50                                       // 000000004648: 807C3280
	v_mfma_f32_16x16x32_fp8_fp8 v[84:87], a[88:89], a[56:57], v[84:87]// 00000000464C: D3F30054 1D527158
	v_mfma_f32_16x16x32_fp8_fp8 v[84:87], a[90:91], a[58:59], v[84:87]// 000000004654: D3F30054 1D52755A
	v_mfma_f32_16x16x32_fp8_fp8 v[84:87], a[92:93], a[60:61], v[84:87]// 00000000465C: D3F30054 1D52795C
	v_mfma_f32_16x16x32_fp8_fp8 v[84:87], a[94:95], a[62:63], v[84:87]// 000000004664: D3F30054 1D527D5E
	s_waitcnt vmcnt(12)                                        // 00000000466C: BF8C0F7C
	s_barrier                                                  // 000000004670: BF8A0000
	v_mfma_f32_16x16x32_fp8_fp8 v[88:91], a[96:97], a[32:33], v[88:91]// 000000004674: D3F30058 1D624160
	v_mfma_f32_16x16x32_fp8_fp8 v[88:91], a[98:99], a[34:35], v[88:91]// 00000000467C: D3F30058 1D624562
	buffer_load_dwordx4 a[80:83], v54, s[84:87], 0 offen       // 000000004684: E05C1000 80955036
	v_mfma_f32_16x16x32_fp8_fp8 v[88:91], a[100:101], a[36:37], v[88:91]// 00000000468C: D3F30058 1D624964
	v_mfma_f32_16x16x32_fp8_fp8 v[88:91], a[102:103], a[38:39], v[88:91]// 000000004694: D3F30058 1D624D66
	ds_read_b128 a[0:3], v2                                    // 00000000469C: DBFE0000 00000002
	ds_read_b128 a[4:7], v2 offset:64                          // 0000000046A4: DBFE0040 04000002
	v_mfma_f32_16x16x32_fp8_fp8 v[104:107], a[104:105], a[32:33], v[104:107]// 0000000046AC: D3F30068 1DA24168
	v_mfma_f32_16x16x32_fp8_fp8 v[104:107], a[106:107], a[34:35], v[104:107]// 0000000046B4: D3F30068 1DA2456A
	buffer_load_dwordx4 a[84:87], v54, s[84:87], 0 offen offset:1024// 0000000046BC: E05C1400 80955436
	v_mfma_f32_16x16x32_fp8_fp8 v[104:107], a[108:109], a[36:37], v[104:107]// 0000000046C4: D3F30068 1DA2496C
	v_mfma_f32_16x16x32_fp8_fp8 v[104:107], a[110:111], a[38:39], v[104:107]// 0000000046CC: D3F30068 1DA24D6E
	ds_read_b128 a[8:11], v2 offset:512                        // 0000000046D4: DBFE0200 08000002
	ds_read_b128 a[12:15], v2 offset:576                       // 0000000046DC: DBFE0240 0C000002
	v_mfma_f32_16x16x32_fp8_fp8 v[92:95], a[96:97], a[40:41], v[92:95]// 0000000046E4: D3F3005C 1D725160
	v_mfma_f32_16x16x32_fp8_fp8 v[92:95], a[98:99], a[42:43], v[92:95]// 0000000046EC: D3F3005C 1D725562
	buffer_load_dwordx4 a[88:91], v55, s[84:87], 0 offen       // 0000000046F4: E05C1000 80955837
	v_mfma_f32_16x16x32_fp8_fp8 v[92:95], a[100:101], a[44:45], v[92:95]// 0000000046FC: D3F3005C 1D725964
	v_mfma_f32_16x16x32_fp8_fp8 v[92:95], a[102:103], a[46:47], v[92:95]// 000000004704: D3F3005C 1D725D66
	ds_read_b128 a[16:19], v2 offset:1024                      // 00000000470C: DBFE0400 10000002
	ds_read_b128 a[20:23], v2 offset:1088                      // 000000004714: DBFE0440 14000002
	v_mfma_f32_16x16x32_fp8_fp8 v[108:111], a[104:105], a[40:41], v[108:111]// 00000000471C: D3F3006C 1DB25168
	v_mfma_f32_16x16x32_fp8_fp8 v[108:111], a[106:107], a[42:43], v[108:111]// 000000004724: D3F3006C 1DB2556A
	buffer_load_dwordx4 a[92:95], v55, s[84:87], 0 offen offset:1024// 00000000472C: E05C1400 80955C37
	v_mfma_f32_16x16x32_fp8_fp8 v[108:111], a[108:109], a[44:45], v[108:111]// 000000004734: D3F3006C 1DB2596C
	v_mfma_f32_16x16x32_fp8_fp8 v[108:111], a[110:111], a[46:47], v[108:111]// 00000000473C: D3F3006C 1DB25D6E
	ds_read_b128 a[24:27], v2 offset:1536                      // 000000004744: DBFE0600 18000002
	ds_read_b128 a[28:31], v2 offset:1600                      // 00000000474C: DBFE0640 1C000002
	v_mfma_f32_16x16x32_fp8_fp8 v[96:99], a[96:97], a[48:49], v[96:99]// 000000004754: D3F30060 1D826160
	v_mfma_f32_16x16x32_fp8_fp8 v[96:99], a[98:99], a[50:51], v[96:99]// 00000000475C: D3F30060 1D826562
	v_mfma_f32_16x16x32_fp8_fp8 v[96:99], a[100:101], a[52:53], v[96:99]// 000000004764: D3F30060 1D826964
	v_mfma_f32_16x16x32_fp8_fp8 v[96:99], a[102:103], a[54:55], v[96:99]// 00000000476C: D3F30060 1D826D66
	v_mfma_f32_16x16x32_fp8_fp8 v[112:115], a[104:105], a[48:49], v[112:115]// 000000004774: D3F30070 1DC26168
	v_mfma_f32_16x16x32_fp8_fp8 v[112:115], a[106:107], a[50:51], v[112:115]// 00000000477C: D3F30070 1DC2656A
	v_mfma_f32_16x16x32_fp8_fp8 v[112:115], a[108:109], a[52:53], v[112:115]// 000000004784: D3F30070 1DC2696C
	v_mfma_f32_16x16x32_fp8_fp8 v[112:115], a[110:111], a[54:55], v[112:115]// 00000000478C: D3F30070 1DC26D6E
	v_mfma_f32_16x16x32_fp8_fp8 v[100:103], a[96:97], a[56:57], v[100:103]// 000000004794: D3F30064 1D927160
	s_add_u32 s60, 0x180, s80                                  // 00000000479C: 803C50FF 00000180
	s_cmp_lt_u32 s60, s81                                      // 0000000047A4: BF0A513C
	s_cselect_b32 s57, s57, 0                                  // 0000000047A8: 85398039
	v_mfma_f32_16x16x32_fp8_fp8 v[100:103], a[98:99], a[58:59], v[100:103]// 0000000047AC: D3F30064 1D927562
	s_add_u32 s60, 0x100, s80                                  // 0000000047B4: 803C50FF 00000100
	s_cmp_lt_u32 s60, s81                                      // 0000000047BC: BF0A513C
	s_cselect_b32 s58, s58, 0                                  // 0000000047C0: 853A803A
	v_mfma_f32_16x16x32_fp8_fp8 v[100:103], a[100:101], a[60:61], v[100:103]// 0000000047C4: D3F30064 1D927964
	s_add_u32 s60, 0x100, s80                                  // 0000000047CC: 803C50FF 00000100
	s_cmp_lt_u32 s60, s81                                      // 0000000047D4: BF0A513C
	s_cselect_b32 s83, s83, 0                                  // 0000000047D8: 85538053
	v_mfma_f32_16x16x32_fp8_fp8 v[100:103], a[102:103], a[62:63], v[100:103]// 0000000047DC: D3F30064 1D927D66
	s_add_u32 s24, s58, s24                                    // 0000000047E4: 8018183A
	s_addc_u32 s25, 0, s25                                     // 0000000047E8: 82191980
	v_mfma_f32_16x16x32_fp8_fp8 v[116:119], a[104:105], a[56:57], v[116:119]// 0000000047EC: D3F30074 1DD27168
	s_add_u32 s20, s57, s20                                    // 0000000047F4: 80141439
	s_addc_u32 s21, 0, s21                                     // 0000000047F8: 82151580
	v_mfma_f32_16x16x32_fp8_fp8 v[116:119], a[106:107], a[58:59], v[116:119]// 0000000047FC: D3F30074 1DD2756A
	s_add_u32 s84, s83, s84                                    // 000000004804: 80545453
	s_addc_u32 s85, 0, s85                                     // 000000004808: 82555580
	v_mfma_f32_16x16x32_fp8_fp8 v[116:119], a[108:109], a[60:61], v[116:119]// 00000000480C: D3F30074 1DD2796C
	v_mfma_f32_16x16x32_fp8_fp8 v[116:119], a[110:111], a[62:63], v[116:119]// 000000004814: D3F30074 1DD27D6E
	s_addk_i32 s80, 0x80                                       // 00000000481C: B7500080
	s_cmp_lt_i32 s80, s81                                      // 000000004820: BF045150
	s_cbranch_scc0 label_078B                                  // 000000004824: BF840001
	s_branch label_0280                                        // 000000004828: BF82FAF5

000000000000482c <label_078B>:
	v_mul_f32_dpp v56, v24, v56 row_newbcast:0 row_mask:0xf bank_mask:0xf// 00000000482C: 0A7070FA FF015018
	v_mul_f32_dpp v57, v24, v57 row_newbcast:1 row_mask:0xf bank_mask:0xf// 000000004834: 0A7272FA FF015118
	v_mul_f32_dpp v58, v24, v58 row_newbcast:2 row_mask:0xf bank_mask:0xf// 00000000483C: 0A7474FA FF015218
	v_mul_f32_dpp v59, v24, v59 row_newbcast:3 row_mask:0xf bank_mask:0xf// 000000004844: 0A7676FA FF015318
	v_mul_f32_dpp v60, v24, v60 row_newbcast:0 row_mask:0xf bank_mask:0xf// 00000000484C: 0A7878FA FF015018
	v_mul_f32_dpp v61, v24, v61 row_newbcast:1 row_mask:0xf bank_mask:0xf// 000000004854: 0A7A7AFA FF015118
	v_mul_f32_dpp v62, v24, v62 row_newbcast:2 row_mask:0xf bank_mask:0xf// 00000000485C: 0A7C7CFA FF015218
	v_mul_f32_dpp v63, v24, v63 row_newbcast:3 row_mask:0xf bank_mask:0xf// 000000004864: 0A7E7EFA FF015318
	v_mul_f32_dpp v64, v24, v64 row_newbcast:0 row_mask:0xf bank_mask:0xf// 00000000486C: 0A8080FA FF015018
	v_mul_f32_dpp v65, v24, v65 row_newbcast:1 row_mask:0xf bank_mask:0xf// 000000004874: 0A8282FA FF015118
	v_mul_f32_dpp v66, v24, v66 row_newbcast:2 row_mask:0xf bank_mask:0xf// 00000000487C: 0A8484FA FF015218
	v_mul_f32_dpp v67, v24, v67 row_newbcast:3 row_mask:0xf bank_mask:0xf// 000000004884: 0A8686FA FF015318
	v_mul_f32_dpp v68, v24, v68 row_newbcast:0 row_mask:0xf bank_mask:0xf// 00000000488C: 0A8888FA FF015018
	v_mul_f32_dpp v69, v24, v69 row_newbcast:1 row_mask:0xf bank_mask:0xf// 000000004894: 0A8A8AFA FF015118
	v_mul_f32_dpp v70, v24, v70 row_newbcast:2 row_mask:0xf bank_mask:0xf// 00000000489C: 0A8C8CFA FF015218
	v_mul_f32_dpp v71, v24, v71 row_newbcast:3 row_mask:0xf bank_mask:0xf// 0000000048A4: 0A8E8EFA FF015318
	v_mul_f32_dpp v72, v24, v72 row_newbcast:4 row_mask:0xf bank_mask:0xf// 0000000048AC: 0A9090FA FF015418
	v_mul_f32_dpp v73, v24, v73 row_newbcast:5 row_mask:0xf bank_mask:0xf// 0000000048B4: 0A9292FA FF015518
	v_mul_f32_dpp v74, v24, v74 row_newbcast:6 row_mask:0xf bank_mask:0xf// 0000000048BC: 0A9494FA FF015618
	v_mul_f32_dpp v75, v24, v75 row_newbcast:7 row_mask:0xf bank_mask:0xf// 0000000048C4: 0A9696FA FF015718
	v_mul_f32_dpp v76, v24, v76 row_newbcast:4 row_mask:0xf bank_mask:0xf// 0000000048CC: 0A9898FA FF015418
	v_mul_f32_dpp v77, v24, v77 row_newbcast:5 row_mask:0xf bank_mask:0xf// 0000000048D4: 0A9A9AFA FF015518
	v_mul_f32_dpp v78, v24, v78 row_newbcast:6 row_mask:0xf bank_mask:0xf// 0000000048DC: 0A9C9CFA FF015618
	v_mul_f32_dpp v79, v24, v79 row_newbcast:7 row_mask:0xf bank_mask:0xf// 0000000048E4: 0A9E9EFA FF015718
	v_mul_f32_dpp v80, v24, v80 row_newbcast:4 row_mask:0xf bank_mask:0xf// 0000000048EC: 0AA0A0FA FF015418
	v_mul_f32_dpp v81, v24, v81 row_newbcast:5 row_mask:0xf bank_mask:0xf// 0000000048F4: 0AA2A2FA FF015518
	v_mul_f32_dpp v82, v24, v82 row_newbcast:6 row_mask:0xf bank_mask:0xf// 0000000048FC: 0AA4A4FA FF015618
	v_mul_f32_dpp v83, v24, v83 row_newbcast:7 row_mask:0xf bank_mask:0xf// 000000004904: 0AA6A6FA FF015718
	v_mul_f32_dpp v84, v24, v84 row_newbcast:4 row_mask:0xf bank_mask:0xf// 00000000490C: 0AA8A8FA FF015418
	v_mul_f32_dpp v85, v24, v85 row_newbcast:5 row_mask:0xf bank_mask:0xf// 000000004914: 0AAAAAFA FF015518
	v_mul_f32_dpp v86, v24, v86 row_newbcast:6 row_mask:0xf bank_mask:0xf// 00000000491C: 0AACACFA FF015618
	v_mul_f32_dpp v87, v24, v87 row_newbcast:7 row_mask:0xf bank_mask:0xf// 000000004924: 0AAEAEFA FF015718
	v_mul_f32_dpp v88, v27, v88 row_newbcast:0 row_mask:0xf bank_mask:0xf// 00000000492C: 0AB0B0FA FF01501B
	v_mul_f32_dpp v89, v27, v89 row_newbcast:1 row_mask:0xf bank_mask:0xf// 000000004934: 0AB2B2FA FF01511B
	v_mul_f32_dpp v90, v27, v90 row_newbcast:2 row_mask:0xf bank_mask:0xf// 00000000493C: 0AB4B4FA FF01521B
	v_mul_f32_dpp v91, v27, v91 row_newbcast:3 row_mask:0xf bank_mask:0xf// 000000004944: 0AB6B6FA FF01531B
	v_mul_f32_dpp v92, v27, v92 row_newbcast:0 row_mask:0xf bank_mask:0xf// 00000000494C: 0AB8B8FA FF01501B
	v_mul_f32_dpp v93, v27, v93 row_newbcast:1 row_mask:0xf bank_mask:0xf// 000000004954: 0ABABAFA FF01511B
	v_mul_f32_dpp v94, v27, v94 row_newbcast:2 row_mask:0xf bank_mask:0xf// 00000000495C: 0ABCBCFA FF01521B
	v_mul_f32_dpp v95, v27, v95 row_newbcast:3 row_mask:0xf bank_mask:0xf// 000000004964: 0ABEBEFA FF01531B
	v_mul_f32_dpp v96, v27, v96 row_newbcast:0 row_mask:0xf bank_mask:0xf// 00000000496C: 0AC0C0FA FF01501B
	v_mul_f32_dpp v97, v27, v97 row_newbcast:1 row_mask:0xf bank_mask:0xf// 000000004974: 0AC2C2FA FF01511B
	v_mul_f32_dpp v98, v27, v98 row_newbcast:2 row_mask:0xf bank_mask:0xf// 00000000497C: 0AC4C4FA FF01521B
	v_mul_f32_dpp v99, v27, v99 row_newbcast:3 row_mask:0xf bank_mask:0xf// 000000004984: 0AC6C6FA FF01531B
	v_mul_f32_dpp v100, v27, v100 row_newbcast:0 row_mask:0xf bank_mask:0xf// 00000000498C: 0AC8C8FA FF01501B
	v_mul_f32_dpp v101, v27, v101 row_newbcast:1 row_mask:0xf bank_mask:0xf// 000000004994: 0ACACAFA FF01511B
	v_mul_f32_dpp v102, v27, v102 row_newbcast:2 row_mask:0xf bank_mask:0xf// 00000000499C: 0ACCCCFA FF01521B
	v_mul_f32_dpp v103, v27, v103 row_newbcast:3 row_mask:0xf bank_mask:0xf// 0000000049A4: 0ACECEFA FF01531B
	v_mul_f32_dpp v104, v27, v104 row_newbcast:4 row_mask:0xf bank_mask:0xf// 0000000049AC: 0AD0D0FA FF01541B
	v_mul_f32_dpp v105, v27, v105 row_newbcast:5 row_mask:0xf bank_mask:0xf// 0000000049B4: 0AD2D2FA FF01551B
	v_mul_f32_dpp v106, v27, v106 row_newbcast:6 row_mask:0xf bank_mask:0xf// 0000000049BC: 0AD4D4FA FF01561B
	v_mul_f32_dpp v107, v27, v107 row_newbcast:7 row_mask:0xf bank_mask:0xf// 0000000049C4: 0AD6D6FA FF01571B
	v_mul_f32_dpp v108, v27, v108 row_newbcast:4 row_mask:0xf bank_mask:0xf// 0000000049CC: 0AD8D8FA FF01541B
	v_mul_f32_dpp v109, v27, v109 row_newbcast:5 row_mask:0xf bank_mask:0xf// 0000000049D4: 0ADADAFA FF01551B
	v_mul_f32_dpp v110, v27, v110 row_newbcast:6 row_mask:0xf bank_mask:0xf// 0000000049DC: 0ADCDCFA FF01561B
	v_mul_f32_dpp v111, v27, v111 row_newbcast:7 row_mask:0xf bank_mask:0xf// 0000000049E4: 0ADEDEFA FF01571B
	v_mul_f32_dpp v112, v27, v112 row_newbcast:4 row_mask:0xf bank_mask:0xf// 0000000049EC: 0AE0E0FA FF01541B
	v_mul_f32_dpp v113, v27, v113 row_newbcast:5 row_mask:0xf bank_mask:0xf// 0000000049F4: 0AE2E2FA FF01551B
	v_mul_f32_dpp v114, v27, v114 row_newbcast:6 row_mask:0xf bank_mask:0xf// 0000000049FC: 0AE4E4FA FF01561B
	v_mul_f32_dpp v115, v27, v115 row_newbcast:7 row_mask:0xf bank_mask:0xf// 000000004A04: 0AE6E6FA FF01571B
	v_mul_f32_dpp v116, v27, v116 row_newbcast:4 row_mask:0xf bank_mask:0xf// 000000004A0C: 0AE8E8FA FF01541B
	v_mul_f32_dpp v117, v27, v117 row_newbcast:5 row_mask:0xf bank_mask:0xf// 000000004A14: 0AEAEAFA FF01551B
	v_mul_f32_dpp v118, v27, v118 row_newbcast:6 row_mask:0xf bank_mask:0xf// 000000004A1C: 0AECECFA FF01561B
	v_mul_f32_dpp v119, v27, v119 row_newbcast:7 row_mask:0xf bank_mask:0xf// 000000004A24: 0AEEEEFA FF01571B
	v_mul_f32_e32 v34, v34, v120                               // 000000004A2C: 0A44F122
	v_mov_b32_e32 v4, v34                                      // 000000004A30: 7E080322
	v_mov_b32_e32 v5, v4                                       // 000000004A34: 7E0A0304
	v_pk_mul_f32 v[56:57], v[4:5], v[56:57]                    // 000000004A38: D3B14038 18027104
	v_pk_mul_f32 v[88:89], v[4:5], v[88:89]                    // 000000004A40: D3B14058 1802B104
	v_pk_mul_f32 v[58:59], v[4:5], v[58:59]                    // 000000004A48: D3B1403A 18027504
	v_pk_mul_f32 v[90:91], v[4:5], v[90:91]                    // 000000004A50: D3B1405A 1802B504
	v_pk_mul_f32 v[72:73], v[4:5], v[72:73]                    // 000000004A58: D3B14048 18029104
	v_pk_mul_f32 v[104:105], v[4:5], v[104:105]                // 000000004A60: D3B14068 1802D104
	v_pk_mul_f32 v[74:75], v[4:5], v[74:75]                    // 000000004A68: D3B1404A 18029504
	v_pk_mul_f32 v[106:107], v[4:5], v[106:107]                // 000000004A70: D3B1406A 1802D504
	v_mul_f32_e32 v35, v35, v121                               // 000000004A78: 0A46F323
	v_mov_b32_e32 v4, v35                                      // 000000004A7C: 7E080323
	v_mov_b32_e32 v5, v4                                       // 000000004A80: 7E0A0304
	v_pk_mul_f32 v[60:61], v[4:5], v[60:61]                    // 000000004A84: D3B1403C 18027904
	v_pk_mul_f32 v[92:93], v[4:5], v[92:93]                    // 000000004A8C: D3B1405C 1802B904
	v_pk_mul_f32 v[62:63], v[4:5], v[62:63]                    // 000000004A94: D3B1403E 18027D04
	v_pk_mul_f32 v[94:95], v[4:5], v[94:95]                    // 000000004A9C: D3B1405E 1802BD04
	v_pk_mul_f32 v[76:77], v[4:5], v[76:77]                    // 000000004AA4: D3B1404C 18029904
	v_pk_mul_f32 v[108:109], v[4:5], v[108:109]                // 000000004AAC: D3B1406C 1802D904
	v_pk_mul_f32 v[78:79], v[4:5], v[78:79]                    // 000000004AB4: D3B1404E 18029D04
	v_pk_mul_f32 v[110:111], v[4:5], v[110:111]                // 000000004ABC: D3B1406E 1802DD04
	v_mul_f32_e32 v36, v36, v122                               // 000000004AC4: 0A48F524
	v_mov_b32_e32 v4, v36                                      // 000000004AC8: 7E080324
	v_mov_b32_e32 v5, v4                                       // 000000004ACC: 7E0A0304
	v_pk_mul_f32 v[64:65], v[4:5], v[64:65]                    // 000000004AD0: D3B14040 18028104
	v_pk_mul_f32 v[96:97], v[4:5], v[96:97]                    // 000000004AD8: D3B14060 1802C104
	v_pk_mul_f32 v[66:67], v[4:5], v[66:67]                    // 000000004AE0: D3B14042 18028504
	v_pk_mul_f32 v[98:99], v[4:5], v[98:99]                    // 000000004AE8: D3B14062 1802C504
	v_pk_mul_f32 v[80:81], v[4:5], v[80:81]                    // 000000004AF0: D3B14050 1802A104
	v_pk_mul_f32 v[112:113], v[4:5], v[112:113]                // 000000004AF8: D3B14070 1802E104
	v_pk_mul_f32 v[82:83], v[4:5], v[82:83]                    // 000000004B00: D3B14052 1802A504
	v_pk_mul_f32 v[114:115], v[4:5], v[114:115]                // 000000004B08: D3B14072 1802E504
	v_mul_f32_e32 v37, v37, v123                               // 000000004B10: 0A4AF725
	v_mov_b32_e32 v4, v37                                      // 000000004B14: 7E080325
	v_mov_b32_e32 v5, v4                                       // 000000004B18: 7E0A0304
	v_pk_mul_f32 v[68:69], v[4:5], v[68:69]                    // 000000004B1C: D3B14044 18028904
	v_pk_mul_f32 v[100:101], v[4:5], v[100:101]                // 000000004B24: D3B14064 1802C904
	v_pk_mul_f32 v[70:71], v[4:5], v[70:71]                    // 000000004B2C: D3B14046 18028D04
	v_pk_mul_f32 v[102:103], v[4:5], v[102:103]                // 000000004B34: D3B14066 1802CD04
	v_pk_mul_f32 v[84:85], v[4:5], v[84:85]                    // 000000004B3C: D3B14054 1802A904
	v_pk_mul_f32 v[116:117], v[4:5], v[116:117]                // 000000004B44: D3B14074 1802E904
	v_pk_mul_f32 v[86:87], v[4:5], v[86:87]                    // 000000004B4C: D3B14056 1802AD04
	v_pk_mul_f32 v[118:119], v[4:5], v[118:119]                // 000000004B54: D3B14076 1802ED04
	s_cmp_eq_u32 s88, 0                                        // 000000004B5C: BF068058
	s_cbranch_scc0 label_0D1A                                  // 000000004B60: BF8404C1
	s_cmp_eq_u32 s89, 0                                        // 000000004B64: BF068059
	s_cbranch_scc1 label_09A0                                  // 000000004B68: BF850145
	v_mov_b32_e32 v8, v1                                       // 000000004B6C: 7E100301
	v_mov_b32_e32 v9, v1                                       // 000000004B70: 7E120301
	s_mov_b32 s60, s6                                          // 000000004B74: BEBC0006
	s_mov_b32 s61, s6                                          // 000000004B78: BEBD0006
	v_pk_mul_f32 v[4:5], v[56:57], v[56:57]                    // 000000004B7C: D3B14004 18027138
	v_pk_mul_f32 v[6:7], v[58:59], v[58:59]                    // 000000004B84: D3B14006 1802753A
	v_pk_fma_f32 v[4:5], v[4:5], s[78:79], v[8:9]              // 000000004B8C: D3B04004 1C209D04
	v_pk_fma_f32 v[6:7], v[6:7], s[78:79], v[8:9]              // 000000004B94: D3B04006 1C209D06
	v_pk_mul_f32 v[4:5], v[4:5], v[56:57]                      // 000000004B9C: D3B14004 18027104
	v_pk_mul_f32 v[6:7], v[6:7], v[58:59]                      // 000000004BA4: D3B14006 18027506
	v_pk_mul_f32 v[4:5], v[4:5], s[60:61]                      // 000000004BAC: D3B14004 18007904
	v_pk_mul_f32 v[6:7], v[6:7], s[60:61]                      // 000000004BB4: D3B14006 18007906
	v_exp_f32_e32 v4, v4                                       // 000000004BBC: 7E084104
	v_exp_f32_e32 v5, v5                                       // 000000004BC0: 7E0A4105
	v_exp_f32_e32 v6, v6                                       // 000000004BC4: 7E0C4106
	v_exp_f32_e32 v7, v7                                       // 000000004BC8: 7E0E4107
	v_add_f32_e64 v4, v4, 1.0                                  // 000000004BCC: D1010004 0001E504
	v_add_f32_e64 v5, v5, 1.0                                  // 000000004BD4: D1010005 0001E505
	v_add_f32_e64 v6, v6, 1.0                                  // 000000004BDC: D1010006 0001E506
	v_add_f32_e64 v7, v7, 1.0                                  // 000000004BE4: D1010007 0001E507
	v_rcp_f32_e32 v4, v4                                       // 000000004BEC: 7E084504
	v_rcp_f32_e32 v5, v5                                       // 000000004BF0: 7E0A4505
	v_rcp_f32_e32 v6, v6                                       // 000000004BF4: 7E0C4506
	v_rcp_f32_e32 v7, v7                                       // 000000004BF8: 7E0E4507
	v_mul_f32_e32 v56, v56, v4                                 // 000000004BFC: 0A700938
	v_mul_f32_e32 v57, v57, v5                                 // 000000004C00: 0A720B39
	v_mul_f32_e32 v58, v58, v6                                 // 000000004C04: 0A740D3A
	v_mul_f32_e32 v59, v59, v7                                 // 000000004C08: 0A760F3B
	v_mul_f32_e32 v56, v56, v88                                // 000000004C0C: 0A70B138
	v_mul_f32_e32 v57, v57, v89                                // 000000004C10: 0A72B339
	v_mul_f32_e32 v58, v58, v90                                // 000000004C14: 0A74B53A
	v_mul_f32_e32 v59, v59, v91                                // 000000004C18: 0A76B73B
	v_pk_mul_f32 v[4:5], v[60:61], v[60:61]                    // 000000004C1C: D3B14004 1802793C
	v_pk_mul_f32 v[6:7], v[62:63], v[62:63]                    // 000000004C24: D3B14006 18027D3E
	v_pk_fma_f32 v[4:5], v[4:5], s[78:79], v[8:9]              // 000000004C2C: D3B04004 1C209D04
	v_pk_fma_f32 v[6:7], v[6:7], s[78:79], v[8:9]              // 000000004C34: D3B04006 1C209D06
	v_pk_mul_f32 v[4:5], v[4:5], v[60:61]                      // 000000004C3C: D3B14004 18027904
	v_pk_mul_f32 v[6:7], v[6:7], v[62:63]                      // 000000004C44: D3B14006 18027D06
	v_pk_mul_f32 v[4:5], v[4:5], s[60:61]                      // 000000004C4C: D3B14004 18007904
	v_pk_mul_f32 v[6:7], v[6:7], s[60:61]                      // 000000004C54: D3B14006 18007906
	v_exp_f32_e32 v4, v4                                       // 000000004C5C: 7E084104
	v_exp_f32_e32 v5, v5                                       // 000000004C60: 7E0A4105
	v_exp_f32_e32 v6, v6                                       // 000000004C64: 7E0C4106
	v_exp_f32_e32 v7, v7                                       // 000000004C68: 7E0E4107
	v_add_f32_e64 v4, v4, 1.0                                  // 000000004C6C: D1010004 0001E504
	v_add_f32_e64 v5, v5, 1.0                                  // 000000004C74: D1010005 0001E505
	v_add_f32_e64 v6, v6, 1.0                                  // 000000004C7C: D1010006 0001E506
	v_add_f32_e64 v7, v7, 1.0                                  // 000000004C84: D1010007 0001E507
	v_rcp_f32_e32 v4, v4                                       // 000000004C8C: 7E084504
	v_rcp_f32_e32 v5, v5                                       // 000000004C90: 7E0A4505
	v_rcp_f32_e32 v6, v6                                       // 000000004C94: 7E0C4506
	v_rcp_f32_e32 v7, v7                                       // 000000004C98: 7E0E4507
	v_mul_f32_e32 v60, v60, v4                                 // 000000004C9C: 0A78093C
	v_mul_f32_e32 v61, v61, v5                                 // 000000004CA0: 0A7A0B3D
	v_mul_f32_e32 v62, v62, v6                                 // 000000004CA4: 0A7C0D3E
	v_mul_f32_e32 v63, v63, v7                                 // 000000004CA8: 0A7E0F3F
	v_mul_f32_e32 v60, v60, v92                                // 000000004CAC: 0A78B93C
	v_mul_f32_e32 v61, v61, v93                                // 000000004CB0: 0A7ABB3D
	v_mul_f32_e32 v62, v62, v94                                // 000000004CB4: 0A7CBD3E
	v_mul_f32_e32 v63, v63, v95                                // 000000004CB8: 0A7EBF3F
	v_pk_mul_f32 v[4:5], v[64:65], v[64:65]                    // 000000004CBC: D3B14004 18028140
	v_pk_mul_f32 v[6:7], v[66:67], v[66:67]                    // 000000004CC4: D3B14006 18028542
	v_pk_fma_f32 v[4:5], v[4:5], s[78:79], v[8:9]              // 000000004CCC: D3B04004 1C209D04
	v_pk_fma_f32 v[6:7], v[6:7], s[78:79], v[8:9]              // 000000004CD4: D3B04006 1C209D06
	v_pk_mul_f32 v[4:5], v[4:5], v[64:65]                      // 000000004CDC: D3B14004 18028104
	v_pk_mul_f32 v[6:7], v[6:7], v[66:67]                      // 000000004CE4: D3B14006 18028506
	v_pk_mul_f32 v[4:5], v[4:5], s[60:61]                      // 000000004CEC: D3B14004 18007904
	v_pk_mul_f32 v[6:7], v[6:7], s[60:61]                      // 000000004CF4: D3B14006 18007906
	v_exp_f32_e32 v4, v4                                       // 000000004CFC: 7E084104
	v_exp_f32_e32 v5, v5                                       // 000000004D00: 7E0A4105
	v_exp_f32_e32 v6, v6                                       // 000000004D04: 7E0C4106
	v_exp_f32_e32 v7, v7                                       // 000000004D08: 7E0E4107
	v_add_f32_e64 v4, v4, 1.0                                  // 000000004D0C: D1010004 0001E504
	v_add_f32_e64 v5, v5, 1.0                                  // 000000004D14: D1010005 0001E505
	v_add_f32_e64 v6, v6, 1.0                                  // 000000004D1C: D1010006 0001E506
	v_add_f32_e64 v7, v7, 1.0                                  // 000000004D24: D1010007 0001E507
	v_rcp_f32_e32 v4, v4                                       // 000000004D2C: 7E084504
	v_rcp_f32_e32 v5, v5                                       // 000000004D30: 7E0A4505
	v_rcp_f32_e32 v6, v6                                       // 000000004D34: 7E0C4506
	v_rcp_f32_e32 v7, v7                                       // 000000004D38: 7E0E4507
	v_mul_f32_e32 v64, v64, v4                                 // 000000004D3C: 0A800940
	v_mul_f32_e32 v65, v65, v5                                 // 000000004D40: 0A820B41
	v_mul_f32_e32 v66, v66, v6                                 // 000000004D44: 0A840D42
	v_mul_f32_e32 v67, v67, v7                                 // 000000004D48: 0A860F43
	v_mul_f32_e32 v64, v64, v96                                // 000000004D4C: 0A80C140
	v_mul_f32_e32 v65, v65, v97                                // 000000004D50: 0A82C341
	v_mul_f32_e32 v66, v66, v98                                // 000000004D54: 0A84C542
	v_mul_f32_e32 v67, v67, v99                                // 000000004D58: 0A86C743
	v_pk_mul_f32 v[4:5], v[68:69], v[68:69]                    // 000000004D5C: D3B14004 18028944
	v_pk_mul_f32 v[6:7], v[70:71], v[70:71]                    // 000000004D64: D3B14006 18028D46
	v_pk_fma_f32 v[4:5], v[4:5], s[78:79], v[8:9]              // 000000004D6C: D3B04004 1C209D04
	v_pk_fma_f32 v[6:7], v[6:7], s[78:79], v[8:9]              // 000000004D74: D3B04006 1C209D06
	v_pk_mul_f32 v[4:5], v[4:5], v[68:69]                      // 000000004D7C: D3B14004 18028904
	v_pk_mul_f32 v[6:7], v[6:7], v[70:71]                      // 000000004D84: D3B14006 18028D06
	v_pk_mul_f32 v[4:5], v[4:5], s[60:61]                      // 000000004D8C: D3B14004 18007904
	v_pk_mul_f32 v[6:7], v[6:7], s[60:61]                      // 000000004D94: D3B14006 18007906
	v_exp_f32_e32 v4, v4                                       // 000000004D9C: 7E084104
	v_exp_f32_e32 v5, v5                                       // 000000004DA0: 7E0A4105
	v_exp_f32_e32 v6, v6                                       // 000000004DA4: 7E0C4106
	v_exp_f32_e32 v7, v7                                       // 000000004DA8: 7E0E4107
	v_add_f32_e64 v4, v4, 1.0                                  // 000000004DAC: D1010004 0001E504
	v_add_f32_e64 v5, v5, 1.0                                  // 000000004DB4: D1010005 0001E505
	v_add_f32_e64 v6, v6, 1.0                                  // 000000004DBC: D1010006 0001E506
	v_add_f32_e64 v7, v7, 1.0                                  // 000000004DC4: D1010007 0001E507
	v_rcp_f32_e32 v4, v4                                       // 000000004DCC: 7E084504
	v_rcp_f32_e32 v5, v5                                       // 000000004DD0: 7E0A4505
	v_rcp_f32_e32 v6, v6                                       // 000000004DD4: 7E0C4506
	v_rcp_f32_e32 v7, v7                                       // 000000004DD8: 7E0E4507
	v_mul_f32_e32 v68, v68, v4                                 // 000000004DDC: 0A880944
	v_mul_f32_e32 v69, v69, v5                                 // 000000004DE0: 0A8A0B45
	v_mul_f32_e32 v70, v70, v6                                 // 000000004DE4: 0A8C0D46
	v_mul_f32_e32 v71, v71, v7                                 // 000000004DE8: 0A8E0F47
	v_mul_f32_e32 v68, v68, v100                               // 000000004DEC: 0A88C944
	v_mul_f32_e32 v69, v69, v101                               // 000000004DF0: 0A8ACB45
	v_mul_f32_e32 v70, v70, v102                               // 000000004DF4: 0A8CCD46
	v_mul_f32_e32 v71, v71, v103                               // 000000004DF8: 0A8ECF47
	v_pk_mul_f32 v[4:5], v[72:73], v[72:73]                    // 000000004DFC: D3B14004 18029148
	v_pk_mul_f32 v[6:7], v[74:75], v[74:75]                    // 000000004E04: D3B14006 1802954A
	v_pk_fma_f32 v[4:5], v[4:5], s[78:79], v[8:9]              // 000000004E0C: D3B04004 1C209D04
	v_pk_fma_f32 v[6:7], v[6:7], s[78:79], v[8:9]              // 000000004E14: D3B04006 1C209D06
	v_pk_mul_f32 v[4:5], v[4:5], v[72:73]                      // 000000004E1C: D3B14004 18029104
	v_pk_mul_f32 v[6:7], v[6:7], v[74:75]                      // 000000004E24: D3B14006 18029506
	v_pk_mul_f32 v[4:5], v[4:5], s[60:61]                      // 000000004E2C: D3B14004 18007904
	v_pk_mul_f32 v[6:7], v[6:7], s[60:61]                      // 000000004E34: D3B14006 18007906
	v_exp_f32_e32 v4, v4                                       // 000000004E3C: 7E084104
	v_exp_f32_e32 v5, v5                                       // 000000004E40: 7E0A4105
	v_exp_f32_e32 v6, v6                                       // 000000004E44: 7E0C4106
	v_exp_f32_e32 v7, v7                                       // 000000004E48: 7E0E4107
	v_add_f32_e64 v4, v4, 1.0                                  // 000000004E4C: D1010004 0001E504
	v_add_f32_e64 v5, v5, 1.0                                  // 000000004E54: D1010005 0001E505
	v_add_f32_e64 v6, v6, 1.0                                  // 000000004E5C: D1010006 0001E506
	v_add_f32_e64 v7, v7, 1.0                                  // 000000004E64: D1010007 0001E507
	v_rcp_f32_e32 v4, v4                                       // 000000004E6C: 7E084504
	v_rcp_f32_e32 v5, v5                                       // 000000004E70: 7E0A4505
	v_rcp_f32_e32 v6, v6                                       // 000000004E74: 7E0C4506
	v_rcp_f32_e32 v7, v7                                       // 000000004E78: 7E0E4507
	v_mul_f32_e32 v72, v72, v4                                 // 000000004E7C: 0A900948
	v_mul_f32_e32 v73, v73, v5                                 // 000000004E80: 0A920B49
	v_mul_f32_e32 v74, v74, v6                                 // 000000004E84: 0A940D4A
	v_mul_f32_e32 v75, v75, v7                                 // 000000004E88: 0A960F4B
	v_mul_f32_e32 v72, v72, v104                               // 000000004E8C: 0A90D148
	v_mul_f32_e32 v73, v73, v105                               // 000000004E90: 0A92D349
	v_mul_f32_e32 v74, v74, v106                               // 000000004E94: 0A94D54A
	v_mul_f32_e32 v75, v75, v107                               // 000000004E98: 0A96D74B
	v_pk_mul_f32 v[4:5], v[76:77], v[76:77]                    // 000000004E9C: D3B14004 1802994C
	v_pk_mul_f32 v[6:7], v[78:79], v[78:79]                    // 000000004EA4: D3B14006 18029D4E
	v_pk_fma_f32 v[4:5], v[4:5], s[78:79], v[8:9]              // 000000004EAC: D3B04004 1C209D04
	v_pk_fma_f32 v[6:7], v[6:7], s[78:79], v[8:9]              // 000000004EB4: D3B04006 1C209D06
	v_pk_mul_f32 v[4:5], v[4:5], v[76:77]                      // 000000004EBC: D3B14004 18029904
	v_pk_mul_f32 v[6:7], v[6:7], v[78:79]                      // 000000004EC4: D3B14006 18029D06
	v_pk_mul_f32 v[4:5], v[4:5], s[60:61]                      // 000000004ECC: D3B14004 18007904
	v_pk_mul_f32 v[6:7], v[6:7], s[60:61]                      // 000000004ED4: D3B14006 18007906
	v_exp_f32_e32 v4, v4                                       // 000000004EDC: 7E084104
	v_exp_f32_e32 v5, v5                                       // 000000004EE0: 7E0A4105
	v_exp_f32_e32 v6, v6                                       // 000000004EE4: 7E0C4106
	v_exp_f32_e32 v7, v7                                       // 000000004EE8: 7E0E4107
	v_add_f32_e64 v4, v4, 1.0                                  // 000000004EEC: D1010004 0001E504
	v_add_f32_e64 v5, v5, 1.0                                  // 000000004EF4: D1010005 0001E505
	v_add_f32_e64 v6, v6, 1.0                                  // 000000004EFC: D1010006 0001E506
	v_add_f32_e64 v7, v7, 1.0                                  // 000000004F04: D1010007 0001E507
	v_rcp_f32_e32 v4, v4                                       // 000000004F0C: 7E084504
	v_rcp_f32_e32 v5, v5                                       // 000000004F10: 7E0A4505
	v_rcp_f32_e32 v6, v6                                       // 000000004F14: 7E0C4506
	v_rcp_f32_e32 v7, v7                                       // 000000004F18: 7E0E4507
	v_mul_f32_e32 v76, v76, v4                                 // 000000004F1C: 0A98094C
	v_mul_f32_e32 v77, v77, v5                                 // 000000004F20: 0A9A0B4D
	v_mul_f32_e32 v78, v78, v6                                 // 000000004F24: 0A9C0D4E
	v_mul_f32_e32 v79, v79, v7                                 // 000000004F28: 0A9E0F4F
	v_mul_f32_e32 v76, v76, v108                               // 000000004F2C: 0A98D94C
	v_mul_f32_e32 v77, v77, v109                               // 000000004F30: 0A9ADB4D
	v_mul_f32_e32 v78, v78, v110                               // 000000004F34: 0A9CDD4E
	v_mul_f32_e32 v79, v79, v111                               // 000000004F38: 0A9EDF4F
	v_pk_mul_f32 v[4:5], v[80:81], v[80:81]                    // 000000004F3C: D3B14004 1802A150
	v_pk_mul_f32 v[6:7], v[82:83], v[82:83]                    // 000000004F44: D3B14006 1802A552
	v_pk_fma_f32 v[4:5], v[4:5], s[78:79], v[8:9]              // 000000004F4C: D3B04004 1C209D04
	v_pk_fma_f32 v[6:7], v[6:7], s[78:79], v[8:9]              // 000000004F54: D3B04006 1C209D06
	v_pk_mul_f32 v[4:5], v[4:5], v[80:81]                      // 000000004F5C: D3B14004 1802A104
	v_pk_mul_f32 v[6:7], v[6:7], v[82:83]                      // 000000004F64: D3B14006 1802A506
	v_pk_mul_f32 v[4:5], v[4:5], s[60:61]                      // 000000004F6C: D3B14004 18007904
	v_pk_mul_f32 v[6:7], v[6:7], s[60:61]                      // 000000004F74: D3B14006 18007906
	v_exp_f32_e32 v4, v4                                       // 000000004F7C: 7E084104
	v_exp_f32_e32 v5, v5                                       // 000000004F80: 7E0A4105
	v_exp_f32_e32 v6, v6                                       // 000000004F84: 7E0C4106
	v_exp_f32_e32 v7, v7                                       // 000000004F88: 7E0E4107
	v_add_f32_e64 v4, v4, 1.0                                  // 000000004F8C: D1010004 0001E504
	v_add_f32_e64 v5, v5, 1.0                                  // 000000004F94: D1010005 0001E505
	v_add_f32_e64 v6, v6, 1.0                                  // 000000004F9C: D1010006 0001E506
	v_add_f32_e64 v7, v7, 1.0                                  // 000000004FA4: D1010007 0001E507
	v_rcp_f32_e32 v4, v4                                       // 000000004FAC: 7E084504
	v_rcp_f32_e32 v5, v5                                       // 000000004FB0: 7E0A4505
	v_rcp_f32_e32 v6, v6                                       // 000000004FB4: 7E0C4506
	v_rcp_f32_e32 v7, v7                                       // 000000004FB8: 7E0E4507
	v_mul_f32_e32 v80, v80, v4                                 // 000000004FBC: 0AA00950
	v_mul_f32_e32 v81, v81, v5                                 // 000000004FC0: 0AA20B51
	v_mul_f32_e32 v82, v82, v6                                 // 000000004FC4: 0AA40D52
	v_mul_f32_e32 v83, v83, v7                                 // 000000004FC8: 0AA60F53
	v_mul_f32_e32 v80, v80, v112                               // 000000004FCC: 0AA0E150
	v_mul_f32_e32 v81, v81, v113                               // 000000004FD0: 0AA2E351
	v_mul_f32_e32 v82, v82, v114                               // 000000004FD4: 0AA4E552
	v_mul_f32_e32 v83, v83, v115                               // 000000004FD8: 0AA6E753
	v_pk_mul_f32 v[4:5], v[84:85], v[84:85]                    // 000000004FDC: D3B14004 1802A954
	v_pk_mul_f32 v[6:7], v[86:87], v[86:87]                    // 000000004FE4: D3B14006 1802AD56
	v_pk_fma_f32 v[4:5], v[4:5], s[78:79], v[8:9]              // 000000004FEC: D3B04004 1C209D04
	v_pk_fma_f32 v[6:7], v[6:7], s[78:79], v[8:9]              // 000000004FF4: D3B04006 1C209D06
	v_pk_mul_f32 v[4:5], v[4:5], v[84:85]                      // 000000004FFC: D3B14004 1802A904
	v_pk_mul_f32 v[6:7], v[6:7], v[86:87]                      // 000000005004: D3B14006 1802AD06
	v_pk_mul_f32 v[4:5], v[4:5], s[60:61]                      // 00000000500C: D3B14004 18007904
	v_pk_mul_f32 v[6:7], v[6:7], s[60:61]                      // 000000005014: D3B14006 18007906
	v_exp_f32_e32 v4, v4                                       // 00000000501C: 7E084104
	v_exp_f32_e32 v5, v5                                       // 000000005020: 7E0A4105
	v_exp_f32_e32 v6, v6                                       // 000000005024: 7E0C4106
	v_exp_f32_e32 v7, v7                                       // 000000005028: 7E0E4107
	v_add_f32_e64 v4, v4, 1.0                                  // 00000000502C: D1010004 0001E504
	v_add_f32_e64 v5, v5, 1.0                                  // 000000005034: D1010005 0001E505
	v_add_f32_e64 v6, v6, 1.0                                  // 00000000503C: D1010006 0001E506
	v_add_f32_e64 v7, v7, 1.0                                  // 000000005044: D1010007 0001E507
	v_rcp_f32_e32 v4, v4                                       // 00000000504C: 7E084504
	v_rcp_f32_e32 v5, v5                                       // 000000005050: 7E0A4505
	v_rcp_f32_e32 v6, v6                                       // 000000005054: 7E0C4506
	v_rcp_f32_e32 v7, v7                                       // 000000005058: 7E0E4507
	v_mul_f32_e32 v84, v84, v4                                 // 00000000505C: 0AA80954
	v_mul_f32_e32 v85, v85, v5                                 // 000000005060: 0AAA0B55
	v_mul_f32_e32 v86, v86, v6                                 // 000000005064: 0AAC0D56
	v_mul_f32_e32 v87, v87, v7                                 // 000000005068: 0AAE0F57
	v_mul_f32_e32 v84, v84, v116                               // 00000000506C: 0AA8E954
	v_mul_f32_e32 v85, v85, v117                               // 000000005070: 0AAAEB55
	v_mul_f32_e32 v86, v86, v118                               // 000000005074: 0AACED56
	v_mul_f32_e32 v87, v87, v119                               // 000000005078: 0AAEEF57
	s_branch label_0AA0                                        // 00000000507C: BF820100

0000000000005080 <label_09A0>:
	v_mul_f32_e64 v4, -v56, s6                                 // 000000005080: D1050004 20000D38
	v_mul_f32_e64 v5, -v57, s6                                 // 000000005088: D1050005 20000D39
	v_mul_f32_e64 v6, -v58, s6                                 // 000000005090: D1050006 20000D3A
	v_mul_f32_e64 v7, -v59, s6                                 // 000000005098: D1050007 20000D3B
	v_exp_f32_e32 v4, v4                                       // 0000000050A0: 7E084104
	v_exp_f32_e32 v5, v5                                       // 0000000050A4: 7E0A4105
	v_exp_f32_e32 v6, v6                                       // 0000000050A8: 7E0C4106
	v_exp_f32_e32 v7, v7                                       // 0000000050AC: 7E0E4107
	v_add_f32_e64 v4, v4, 1.0                                  // 0000000050B0: D1010004 0001E504
	v_add_f32_e64 v5, v5, 1.0                                  // 0000000050B8: D1010005 0001E505
	v_add_f32_e64 v6, v6, 1.0                                  // 0000000050C0: D1010006 0001E506
	v_add_f32_e64 v7, v7, 1.0                                  // 0000000050C8: D1010007 0001E507
	v_rcp_f32_e32 v4, v4                                       // 0000000050D0: 7E084504
	v_rcp_f32_e32 v5, v5                                       // 0000000050D4: 7E0A4505
	v_rcp_f32_e32 v6, v6                                       // 0000000050D8: 7E0C4506
	v_rcp_f32_e32 v7, v7                                       // 0000000050DC: 7E0E4507
	v_mul_f32_e32 v56, v56, v4                                 // 0000000050E0: 0A700938
	v_mul_f32_e32 v57, v57, v5                                 // 0000000050E4: 0A720B39
	v_mul_f32_e32 v58, v58, v6                                 // 0000000050E8: 0A740D3A
	v_mul_f32_e32 v59, v59, v7                                 // 0000000050EC: 0A760F3B
	v_mul_f32_e32 v56, v56, v88                                // 0000000050F0: 0A70B138
	v_mul_f32_e32 v57, v57, v89                                // 0000000050F4: 0A72B339
	v_mul_f32_e32 v58, v58, v90                                // 0000000050F8: 0A74B53A
	v_mul_f32_e32 v59, v59, v91                                // 0000000050FC: 0A76B73B
	v_mul_f32_e64 v4, -v60, s6                                 // 000000005100: D1050004 20000D3C
	v_mul_f32_e64 v5, -v61, s6                                 // 000000005108: D1050005 20000D3D
	v_mul_f32_e64 v6, -v62, s6                                 // 000000005110: D1050006 20000D3E
	v_mul_f32_e64 v7, -v63, s6                                 // 000000005118: D1050007 20000D3F
	v_exp_f32_e32 v4, v4                                       // 000000005120: 7E084104
	v_exp_f32_e32 v5, v5                                       // 000000005124: 7E0A4105
	v_exp_f32_e32 v6, v6                                       // 000000005128: 7E0C4106
	v_exp_f32_e32 v7, v7                                       // 00000000512C: 7E0E4107
	v_add_f32_e64 v4, v4, 1.0                                  // 000000005130: D1010004 0001E504
	v_add_f32_e64 v5, v5, 1.0                                  // 000000005138: D1010005 0001E505
	v_add_f32_e64 v6, v6, 1.0                                  // 000000005140: D1010006 0001E506
	v_add_f32_e64 v7, v7, 1.0                                  // 000000005148: D1010007 0001E507
	v_rcp_f32_e32 v4, v4                                       // 000000005150: 7E084504
	v_rcp_f32_e32 v5, v5                                       // 000000005154: 7E0A4505
	v_rcp_f32_e32 v6, v6                                       // 000000005158: 7E0C4506
	v_rcp_f32_e32 v7, v7                                       // 00000000515C: 7E0E4507
	v_mul_f32_e32 v60, v60, v4                                 // 000000005160: 0A78093C
	v_mul_f32_e32 v61, v61, v5                                 // 000000005164: 0A7A0B3D
	v_mul_f32_e32 v62, v62, v6                                 // 000000005168: 0A7C0D3E
	v_mul_f32_e32 v63, v63, v7                                 // 00000000516C: 0A7E0F3F
	v_mul_f32_e32 v60, v60, v92                                // 000000005170: 0A78B93C
	v_mul_f32_e32 v61, v61, v93                                // 000000005174: 0A7ABB3D
	v_mul_f32_e32 v62, v62, v94                                // 000000005178: 0A7CBD3E
	v_mul_f32_e32 v63, v63, v95                                // 00000000517C: 0A7EBF3F
	v_mul_f32_e64 v4, -v64, s6                                 // 000000005180: D1050004 20000D40
	v_mul_f32_e64 v5, -v65, s6                                 // 000000005188: D1050005 20000D41
	v_mul_f32_e64 v6, -v66, s6                                 // 000000005190: D1050006 20000D42
	v_mul_f32_e64 v7, -v67, s6                                 // 000000005198: D1050007 20000D43
	v_exp_f32_e32 v4, v4                                       // 0000000051A0: 7E084104
	v_exp_f32_e32 v5, v5                                       // 0000000051A4: 7E0A4105
	v_exp_f32_e32 v6, v6                                       // 0000000051A8: 7E0C4106
	v_exp_f32_e32 v7, v7                                       // 0000000051AC: 7E0E4107
	v_add_f32_e64 v4, v4, 1.0                                  // 0000000051B0: D1010004 0001E504
	v_add_f32_e64 v5, v5, 1.0                                  // 0000000051B8: D1010005 0001E505
	v_add_f32_e64 v6, v6, 1.0                                  // 0000000051C0: D1010006 0001E506
	v_add_f32_e64 v7, v7, 1.0                                  // 0000000051C8: D1010007 0001E507
	v_rcp_f32_e32 v4, v4                                       // 0000000051D0: 7E084504
	v_rcp_f32_e32 v5, v5                                       // 0000000051D4: 7E0A4505
	v_rcp_f32_e32 v6, v6                                       // 0000000051D8: 7E0C4506
	v_rcp_f32_e32 v7, v7                                       // 0000000051DC: 7E0E4507
	v_mul_f32_e32 v64, v64, v4                                 // 0000000051E0: 0A800940
	v_mul_f32_e32 v65, v65, v5                                 // 0000000051E4: 0A820B41
	v_mul_f32_e32 v66, v66, v6                                 // 0000000051E8: 0A840D42
	v_mul_f32_e32 v67, v67, v7                                 // 0000000051EC: 0A860F43
	v_mul_f32_e32 v64, v64, v96                                // 0000000051F0: 0A80C140
	v_mul_f32_e32 v65, v65, v97                                // 0000000051F4: 0A82C341
	v_mul_f32_e32 v66, v66, v98                                // 0000000051F8: 0A84C542
	v_mul_f32_e32 v67, v67, v99                                // 0000000051FC: 0A86C743
	v_mul_f32_e64 v4, -v68, s6                                 // 000000005200: D1050004 20000D44
	v_mul_f32_e64 v5, -v69, s6                                 // 000000005208: D1050005 20000D45
	v_mul_f32_e64 v6, -v70, s6                                 // 000000005210: D1050006 20000D46
	v_mul_f32_e64 v7, -v71, s6                                 // 000000005218: D1050007 20000D47
	v_exp_f32_e32 v4, v4                                       // 000000005220: 7E084104
	v_exp_f32_e32 v5, v5                                       // 000000005224: 7E0A4105
	v_exp_f32_e32 v6, v6                                       // 000000005228: 7E0C4106
	v_exp_f32_e32 v7, v7                                       // 00000000522C: 7E0E4107
	v_add_f32_e64 v4, v4, 1.0                                  // 000000005230: D1010004 0001E504
	v_add_f32_e64 v5, v5, 1.0                                  // 000000005238: D1010005 0001E505
	v_add_f32_e64 v6, v6, 1.0                                  // 000000005240: D1010006 0001E506
	v_add_f32_e64 v7, v7, 1.0                                  // 000000005248: D1010007 0001E507
	v_rcp_f32_e32 v4, v4                                       // 000000005250: 7E084504
	v_rcp_f32_e32 v5, v5                                       // 000000005254: 7E0A4505
	v_rcp_f32_e32 v6, v6                                       // 000000005258: 7E0C4506
	v_rcp_f32_e32 v7, v7                                       // 00000000525C: 7E0E4507
	v_mul_f32_e32 v68, v68, v4                                 // 000000005260: 0A880944
	v_mul_f32_e32 v69, v69, v5                                 // 000000005264: 0A8A0B45
	v_mul_f32_e32 v70, v70, v6                                 // 000000005268: 0A8C0D46
	v_mul_f32_e32 v71, v71, v7                                 // 00000000526C: 0A8E0F47
	v_mul_f32_e32 v68, v68, v100                               // 000000005270: 0A88C944
	v_mul_f32_e32 v69, v69, v101                               // 000000005274: 0A8ACB45
	v_mul_f32_e32 v70, v70, v102                               // 000000005278: 0A8CCD46
	v_mul_f32_e32 v71, v71, v103                               // 00000000527C: 0A8ECF47
	v_mul_f32_e64 v4, -v72, s6                                 // 000000005280: D1050004 20000D48
	v_mul_f32_e64 v5, -v73, s6                                 // 000000005288: D1050005 20000D49
	v_mul_f32_e64 v6, -v74, s6                                 // 000000005290: D1050006 20000D4A
	v_mul_f32_e64 v7, -v75, s6                                 // 000000005298: D1050007 20000D4B
	v_exp_f32_e32 v4, v4                                       // 0000000052A0: 7E084104
	v_exp_f32_e32 v5, v5                                       // 0000000052A4: 7E0A4105
	v_exp_f32_e32 v6, v6                                       // 0000000052A8: 7E0C4106
	v_exp_f32_e32 v7, v7                                       // 0000000052AC: 7E0E4107
	v_add_f32_e64 v4, v4, 1.0                                  // 0000000052B0: D1010004 0001E504
	v_add_f32_e64 v5, v5, 1.0                                  // 0000000052B8: D1010005 0001E505
	v_add_f32_e64 v6, v6, 1.0                                  // 0000000052C0: D1010006 0001E506
	v_add_f32_e64 v7, v7, 1.0                                  // 0000000052C8: D1010007 0001E507
	v_rcp_f32_e32 v4, v4                                       // 0000000052D0: 7E084504
	v_rcp_f32_e32 v5, v5                                       // 0000000052D4: 7E0A4505
	v_rcp_f32_e32 v6, v6                                       // 0000000052D8: 7E0C4506
	v_rcp_f32_e32 v7, v7                                       // 0000000052DC: 7E0E4507
	v_mul_f32_e32 v72, v72, v4                                 // 0000000052E0: 0A900948
	v_mul_f32_e32 v73, v73, v5                                 // 0000000052E4: 0A920B49
	v_mul_f32_e32 v74, v74, v6                                 // 0000000052E8: 0A940D4A
	v_mul_f32_e32 v75, v75, v7                                 // 0000000052EC: 0A960F4B
	v_mul_f32_e32 v72, v72, v104                               // 0000000052F0: 0A90D148
	v_mul_f32_e32 v73, v73, v105                               // 0000000052F4: 0A92D349
	v_mul_f32_e32 v74, v74, v106                               // 0000000052F8: 0A94D54A
	v_mul_f32_e32 v75, v75, v107                               // 0000000052FC: 0A96D74B
	v_mul_f32_e64 v4, -v76, s6                                 // 000000005300: D1050004 20000D4C
	v_mul_f32_e64 v5, -v77, s6                                 // 000000005308: D1050005 20000D4D
	v_mul_f32_e64 v6, -v78, s6                                 // 000000005310: D1050006 20000D4E
	v_mul_f32_e64 v7, -v79, s6                                 // 000000005318: D1050007 20000D4F
	v_exp_f32_e32 v4, v4                                       // 000000005320: 7E084104
	v_exp_f32_e32 v5, v5                                       // 000000005324: 7E0A4105
	v_exp_f32_e32 v6, v6                                       // 000000005328: 7E0C4106
	v_exp_f32_e32 v7, v7                                       // 00000000532C: 7E0E4107
	v_add_f32_e64 v4, v4, 1.0                                  // 000000005330: D1010004 0001E504
	v_add_f32_e64 v5, v5, 1.0                                  // 000000005338: D1010005 0001E505
	v_add_f32_e64 v6, v6, 1.0                                  // 000000005340: D1010006 0001E506
	v_add_f32_e64 v7, v7, 1.0                                  // 000000005348: D1010007 0001E507
	v_rcp_f32_e32 v4, v4                                       // 000000005350: 7E084504
	v_rcp_f32_e32 v5, v5                                       // 000000005354: 7E0A4505
	v_rcp_f32_e32 v6, v6                                       // 000000005358: 7E0C4506
	v_rcp_f32_e32 v7, v7                                       // 00000000535C: 7E0E4507
	v_mul_f32_e32 v76, v76, v4                                 // 000000005360: 0A98094C
	v_mul_f32_e32 v77, v77, v5                                 // 000000005364: 0A9A0B4D
	v_mul_f32_e32 v78, v78, v6                                 // 000000005368: 0A9C0D4E
	v_mul_f32_e32 v79, v79, v7                                 // 00000000536C: 0A9E0F4F
	v_mul_f32_e32 v76, v76, v108                               // 000000005370: 0A98D94C
	v_mul_f32_e32 v77, v77, v109                               // 000000005374: 0A9ADB4D
	v_mul_f32_e32 v78, v78, v110                               // 000000005378: 0A9CDD4E
	v_mul_f32_e32 v79, v79, v111                               // 00000000537C: 0A9EDF4F
	v_mul_f32_e64 v4, -v80, s6                                 // 000000005380: D1050004 20000D50
	v_mul_f32_e64 v5, -v81, s6                                 // 000000005388: D1050005 20000D51
	v_mul_f32_e64 v6, -v82, s6                                 // 000000005390: D1050006 20000D52
	v_mul_f32_e64 v7, -v83, s6                                 // 000000005398: D1050007 20000D53
	v_exp_f32_e32 v4, v4                                       // 0000000053A0: 7E084104
	v_exp_f32_e32 v5, v5                                       // 0000000053A4: 7E0A4105
	v_exp_f32_e32 v6, v6                                       // 0000000053A8: 7E0C4106
	v_exp_f32_e32 v7, v7                                       // 0000000053AC: 7E0E4107
	v_add_f32_e64 v4, v4, 1.0                                  // 0000000053B0: D1010004 0001E504
	v_add_f32_e64 v5, v5, 1.0                                  // 0000000053B8: D1010005 0001E505
	v_add_f32_e64 v6, v6, 1.0                                  // 0000000053C0: D1010006 0001E506
	v_add_f32_e64 v7, v7, 1.0                                  // 0000000053C8: D1010007 0001E507
	v_rcp_f32_e32 v4, v4                                       // 0000000053D0: 7E084504
	v_rcp_f32_e32 v5, v5                                       // 0000000053D4: 7E0A4505
	v_rcp_f32_e32 v6, v6                                       // 0000000053D8: 7E0C4506
	v_rcp_f32_e32 v7, v7                                       // 0000000053DC: 7E0E4507
	v_mul_f32_e32 v80, v80, v4                                 // 0000000053E0: 0AA00950
	v_mul_f32_e32 v81, v81, v5                                 // 0000000053E4: 0AA20B51
	v_mul_f32_e32 v82, v82, v6                                 // 0000000053E8: 0AA40D52
	v_mul_f32_e32 v83, v83, v7                                 // 0000000053EC: 0AA60F53
	v_mul_f32_e32 v80, v80, v112                               // 0000000053F0: 0AA0E150
	v_mul_f32_e32 v81, v81, v113                               // 0000000053F4: 0AA2E351
	v_mul_f32_e32 v82, v82, v114                               // 0000000053F8: 0AA4E552
	v_mul_f32_e32 v83, v83, v115                               // 0000000053FC: 0AA6E753
	v_mul_f32_e64 v4, -v84, s6                                 // 000000005400: D1050004 20000D54
	v_mul_f32_e64 v5, -v85, s6                                 // 000000005408: D1050005 20000D55
	v_mul_f32_e64 v6, -v86, s6                                 // 000000005410: D1050006 20000D56
	v_mul_f32_e64 v7, -v87, s6                                 // 000000005418: D1050007 20000D57
	v_exp_f32_e32 v4, v4                                       // 000000005420: 7E084104
	v_exp_f32_e32 v5, v5                                       // 000000005424: 7E0A4105
	v_exp_f32_e32 v6, v6                                       // 000000005428: 7E0C4106
	v_exp_f32_e32 v7, v7                                       // 00000000542C: 7E0E4107
	v_add_f32_e64 v4, v4, 1.0                                  // 000000005430: D1010004 0001E504
	v_add_f32_e64 v5, v5, 1.0                                  // 000000005438: D1010005 0001E505
	v_add_f32_e64 v6, v6, 1.0                                  // 000000005440: D1010006 0001E506
	v_add_f32_e64 v7, v7, 1.0                                  // 000000005448: D1010007 0001E507
	v_rcp_f32_e32 v4, v4                                       // 000000005450: 7E084504
	v_rcp_f32_e32 v5, v5                                       // 000000005454: 7E0A4505
	v_rcp_f32_e32 v6, v6                                       // 000000005458: 7E0C4506
	v_rcp_f32_e32 v7, v7                                       // 00000000545C: 7E0E4507
	v_mul_f32_e32 v84, v84, v4                                 // 000000005460: 0AA80954
	v_mul_f32_e32 v85, v85, v5                                 // 000000005464: 0AAA0B55
	v_mul_f32_e32 v86, v86, v6                                 // 000000005468: 0AAC0D56
	v_mul_f32_e32 v87, v87, v7                                 // 00000000546C: 0AAE0F57
	v_mul_f32_e32 v84, v84, v116                               // 000000005470: 0AA8E954
	v_mul_f32_e32 v85, v85, v117                               // 000000005474: 0AAAEB55
	v_mul_f32_e32 v86, v86, v118                               // 000000005478: 0AACED56
	v_mul_f32_e32 v87, v87, v119                               // 00000000547C: 0AAEEF57

0000000000005480 <label_0AA0>:
	v_cmp_u_f32_e64 s[46:47], v56, v56                         // 000000005480: D048002E 00027138
	v_add3_u32 v16, v56, v19, 1                                // 000000005488: D1FF0010 02062738
	v_cndmask_b32_e64 v4, v16, v18, s[46:47]                   // 000000005490: D1000004 00BA2510
	v_cmp_u_f32_e64 s[46:47], v57, v57                         // 000000005498: D048002E 00027339
	v_add3_u32 v16, v57, v19, 1                                // 0000000054A0: D1FF0010 02062739
	v_cndmask_b32_e64 v5, v16, v18, s[46:47]                   // 0000000054A8: D1000005 00BA2510
	v_perm_b32 v56, v5, v4, s52                                // 0000000054B0: D1ED0038 00D20905
	v_cmp_u_f32_e64 s[46:47], v58, v58                         // 0000000054B8: D048002E 0002753A
	v_add3_u32 v16, v58, v19, 1                                // 0000000054C0: D1FF0010 0206273A
	v_cndmask_b32_e64 v4, v16, v18, s[46:47]                   // 0000000054C8: D1000004 00BA2510
	v_cmp_u_f32_e64 s[46:47], v59, v59                         // 0000000054D0: D048002E 0002773B
	v_add3_u32 v16, v59, v19, 1                                // 0000000054D8: D1FF0010 0206273B
	v_cndmask_b32_e64 v5, v16, v18, s[46:47]                   // 0000000054E0: D1000005 00BA2510
	v_perm_b32 v57, v5, v4, s52                                // 0000000054E8: D1ED0039 00D20905
	v_cmp_u_f32_e64 s[46:47], v60, v60                         // 0000000054F0: D048002E 0002793C
	v_add3_u32 v16, v60, v19, 1                                // 0000000054F8: D1FF0010 0206273C
	v_cndmask_b32_e64 v4, v16, v18, s[46:47]                   // 000000005500: D1000004 00BA2510
	v_cmp_u_f32_e64 s[46:47], v61, v61                         // 000000005508: D048002E 00027B3D
	v_add3_u32 v16, v61, v19, 1                                // 000000005510: D1FF0010 0206273D
	v_cndmask_b32_e64 v5, v16, v18, s[46:47]                   // 000000005518: D1000005 00BA2510
	v_perm_b32 v58, v5, v4, s52                                // 000000005520: D1ED003A 00D20905
	v_cmp_u_f32_e64 s[46:47], v62, v62                         // 000000005528: D048002E 00027D3E
	v_add3_u32 v16, v62, v19, 1                                // 000000005530: D1FF0010 0206273E
	v_cndmask_b32_e64 v4, v16, v18, s[46:47]                   // 000000005538: D1000004 00BA2510
	v_cmp_u_f32_e64 s[46:47], v63, v63                         // 000000005540: D048002E 00027F3F
	v_add3_u32 v16, v63, v19, 1                                // 000000005548: D1FF0010 0206273F
	v_cndmask_b32_e64 v5, v16, v18, s[46:47]                   // 000000005550: D1000005 00BA2510
	v_perm_b32 v59, v5, v4, s52                                // 000000005558: D1ED003B 00D20905
	v_cmp_u_f32_e64 s[46:47], v64, v64                         // 000000005560: D048002E 00028140
	v_add3_u32 v16, v64, v19, 1                                // 000000005568: D1FF0010 02062740
	v_cndmask_b32_e64 v4, v16, v18, s[46:47]                   // 000000005570: D1000004 00BA2510
	v_cmp_u_f32_e64 s[46:47], v65, v65                         // 000000005578: D048002E 00028341
	v_add3_u32 v16, v65, v19, 1                                // 000000005580: D1FF0010 02062741
	v_cndmask_b32_e64 v5, v16, v18, s[46:47]                   // 000000005588: D1000005 00BA2510
	v_perm_b32 v60, v5, v4, s52                                // 000000005590: D1ED003C 00D20905
	v_cmp_u_f32_e64 s[46:47], v66, v66                         // 000000005598: D048002E 00028542
	v_add3_u32 v16, v66, v19, 1                                // 0000000055A0: D1FF0010 02062742
	v_cndmask_b32_e64 v4, v16, v18, s[46:47]                   // 0000000055A8: D1000004 00BA2510
	v_cmp_u_f32_e64 s[46:47], v67, v67                         // 0000000055B0: D048002E 00028743
	v_add3_u32 v16, v67, v19, 1                                // 0000000055B8: D1FF0010 02062743
	v_cndmask_b32_e64 v5, v16, v18, s[46:47]                   // 0000000055C0: D1000005 00BA2510
	v_perm_b32 v61, v5, v4, s52                                // 0000000055C8: D1ED003D 00D20905
	v_cmp_u_f32_e64 s[46:47], v68, v68                         // 0000000055D0: D048002E 00028944
	v_add3_u32 v16, v68, v19, 1                                // 0000000055D8: D1FF0010 02062744
	v_cndmask_b32_e64 v4, v16, v18, s[46:47]                   // 0000000055E0: D1000004 00BA2510
	v_cmp_u_f32_e64 s[46:47], v69, v69                         // 0000000055E8: D048002E 00028B45
	v_add3_u32 v16, v69, v19, 1                                // 0000000055F0: D1FF0010 02062745
	v_cndmask_b32_e64 v5, v16, v18, s[46:47]                   // 0000000055F8: D1000005 00BA2510
	v_perm_b32 v62, v5, v4, s52                                // 000000005600: D1ED003E 00D20905
	v_cmp_u_f32_e64 s[46:47], v70, v70                         // 000000005608: D048002E 00028D46
	v_add3_u32 v16, v70, v19, 1                                // 000000005610: D1FF0010 02062746
	v_cndmask_b32_e64 v4, v16, v18, s[46:47]                   // 000000005618: D1000004 00BA2510
	v_cmp_u_f32_e64 s[46:47], v71, v71                         // 000000005620: D048002E 00028F47
	v_add3_u32 v16, v71, v19, 1                                // 000000005628: D1FF0010 02062747
	v_cndmask_b32_e64 v5, v16, v18, s[46:47]                   // 000000005630: D1000005 00BA2510
	v_perm_b32 v63, v5, v4, s52                                // 000000005638: D1ED003F 00D20905
	v_cmp_u_f32_e64 s[46:47], v72, v72                         // 000000005640: D048002E 00029148
	v_add3_u32 v16, v72, v19, 1                                // 000000005648: D1FF0010 02062748
	v_cndmask_b32_e64 v4, v16, v18, s[46:47]                   // 000000005650: D1000004 00BA2510
	v_cmp_u_f32_e64 s[46:47], v73, v73                         // 000000005658: D048002E 00029349
	v_add3_u32 v16, v73, v19, 1                                // 000000005660: D1FF0010 02062749
	v_cndmask_b32_e64 v5, v16, v18, s[46:47]                   // 000000005668: D1000005 00BA2510
	v_perm_b32 v64, v5, v4, s52                                // 000000005670: D1ED0040 00D20905
	v_cmp_u_f32_e64 s[46:47], v74, v74                         // 000000005678: D048002E 0002954A
	v_add3_u32 v16, v74, v19, 1                                // 000000005680: D1FF0010 0206274A
	v_cndmask_b32_e64 v4, v16, v18, s[46:47]                   // 000000005688: D1000004 00BA2510
	v_cmp_u_f32_e64 s[46:47], v75, v75                         // 000000005690: D048002E 0002974B
	v_add3_u32 v16, v75, v19, 1                                // 000000005698: D1FF0010 0206274B
	v_cndmask_b32_e64 v5, v16, v18, s[46:47]                   // 0000000056A0: D1000005 00BA2510
	v_perm_b32 v65, v5, v4, s52                                // 0000000056A8: D1ED0041 00D20905
	v_cmp_u_f32_e64 s[46:47], v76, v76                         // 0000000056B0: D048002E 0002994C
	v_add3_u32 v16, v76, v19, 1                                // 0000000056B8: D1FF0010 0206274C
	v_cndmask_b32_e64 v4, v16, v18, s[46:47]                   // 0000000056C0: D1000004 00BA2510
	v_cmp_u_f32_e64 s[46:47], v77, v77                         // 0000000056C8: D048002E 00029B4D
	v_add3_u32 v16, v77, v19, 1                                // 0000000056D0: D1FF0010 0206274D
	v_cndmask_b32_e64 v5, v16, v18, s[46:47]                   // 0000000056D8: D1000005 00BA2510
	v_perm_b32 v66, v5, v4, s52                                // 0000000056E0: D1ED0042 00D20905
	v_cmp_u_f32_e64 s[46:47], v78, v78                         // 0000000056E8: D048002E 00029D4E
	v_add3_u32 v16, v78, v19, 1                                // 0000000056F0: D1FF0010 0206274E
	v_cndmask_b32_e64 v4, v16, v18, s[46:47]                   // 0000000056F8: D1000004 00BA2510
	v_cmp_u_f32_e64 s[46:47], v79, v79                         // 000000005700: D048002E 00029F4F
	v_add3_u32 v16, v79, v19, 1                                // 000000005708: D1FF0010 0206274F
	v_cndmask_b32_e64 v5, v16, v18, s[46:47]                   // 000000005710: D1000005 00BA2510
	v_perm_b32 v67, v5, v4, s52                                // 000000005718: D1ED0043 00D20905
	v_cmp_u_f32_e64 s[46:47], v80, v80                         // 000000005720: D048002E 0002A150
	v_add3_u32 v16, v80, v19, 1                                // 000000005728: D1FF0010 02062750
	v_cndmask_b32_e64 v4, v16, v18, s[46:47]                   // 000000005730: D1000004 00BA2510
	v_cmp_u_f32_e64 s[46:47], v81, v81                         // 000000005738: D048002E 0002A351
	v_add3_u32 v16, v81, v19, 1                                // 000000005740: D1FF0010 02062751
	v_cndmask_b32_e64 v5, v16, v18, s[46:47]                   // 000000005748: D1000005 00BA2510
	v_perm_b32 v68, v5, v4, s52                                // 000000005750: D1ED0044 00D20905
	v_cmp_u_f32_e64 s[46:47], v82, v82                         // 000000005758: D048002E 0002A552
	v_add3_u32 v16, v82, v19, 1                                // 000000005760: D1FF0010 02062752
	v_cndmask_b32_e64 v4, v16, v18, s[46:47]                   // 000000005768: D1000004 00BA2510
	v_cmp_u_f32_e64 s[46:47], v83, v83                         // 000000005770: D048002E 0002A753
	v_add3_u32 v16, v83, v19, 1                                // 000000005778: D1FF0010 02062753
	v_cndmask_b32_e64 v5, v16, v18, s[46:47]                   // 000000005780: D1000005 00BA2510
	v_perm_b32 v69, v5, v4, s52                                // 000000005788: D1ED0045 00D20905
	v_cmp_u_f32_e64 s[46:47], v84, v84                         // 000000005790: D048002E 0002A954
	v_add3_u32 v16, v84, v19, 1                                // 000000005798: D1FF0010 02062754
	v_cndmask_b32_e64 v4, v16, v18, s[46:47]                   // 0000000057A0: D1000004 00BA2510
	v_cmp_u_f32_e64 s[46:47], v85, v85                         // 0000000057A8: D048002E 0002AB55
	v_add3_u32 v16, v85, v19, 1                                // 0000000057B0: D1FF0010 02062755
	v_cndmask_b32_e64 v5, v16, v18, s[46:47]                   // 0000000057B8: D1000005 00BA2510
	v_perm_b32 v70, v5, v4, s52                                // 0000000057C0: D1ED0046 00D20905
	v_cmp_u_f32_e64 s[46:47], v86, v86                         // 0000000057C8: D048002E 0002AD56
	v_add3_u32 v16, v86, v19, 1                                // 0000000057D0: D1FF0010 02062756
	v_cndmask_b32_e64 v4, v16, v18, s[46:47]                   // 0000000057D8: D1000004 00BA2510
	v_cmp_u_f32_e64 s[46:47], v87, v87                         // 0000000057E0: D048002E 0002AF57
	v_add3_u32 v16, v87, v19, 1                                // 0000000057E8: D1FF0010 02062757
	v_cndmask_b32_e64 v5, v16, v18, s[46:47]                   // 0000000057F0: D1000005 00BA2510
	v_perm_b32 v71, v5, v4, s52                                // 0000000057F8: D1ED0047 00D20905
	ds_write_b64 v20, v[56:57]                                 // 000000005800: D89A0000 00003814
	ds_write_b64 v20, v[58:59] offset:4352                     // 000000005808: D89A1100 00003A14
	ds_write_b64 v20, v[60:61] offset:8704                     // 000000005810: D89A2200 00003C14
	ds_write_b64 v20, v[62:63] offset:13056                    // 000000005818: D89A3300 00003E14
	ds_write_b64 v20, v[64:65] offset:2176                     // 000000005820: D89A0880 00004014
	ds_write_b64 v20, v[66:67] offset:6528                     // 000000005828: D89A1980 00004214
	ds_write_b64 v20, v[68:69] offset:10880                    // 000000005830: D89A2A80 00004414
	ds_write_b64 v20, v[70:71] offset:15232                    // 000000005838: D89A3B80 00004614
	v_lshrrev_b32_e32 v4, 5, v0                                // 000000005840: 20080085
	v_xor_b32_e32 v5, 1, v4                                    // 000000005844: 2A0A0881
	s_mul_i32 s60, s65, 2                                      // 000000005848: 923C8241
	s_cmp_eq_u32 s88, 0                                        // 00000000584C: BF068058
	s_cselect_b32 s61, 1, 4                                    // 000000005850: 853D8481
	s_mul_i32 s60, s61, s60                                    // 000000005854: 923C3C3D
	v_readlane_b32 s82, v3, 0                                  // 000000005858: D2890052 00010103
	s_lshr_b32 s61, s82, 24                                    // 000000005860: 8F3D9852
	s_and_b32 s82, s82, 0xffffff                               // 000000005864: 8652FF52 00FFFFFF
	s_mul_i32 s82, s82, s71                                    // 00000000586C: 92524752
	s_mul_i32 s61, s60, s61                                    // 000000005870: 923D3D3C
	s_add_u32 s82, s82, s61                                    // 000000005874: 80523D52
	v_mul_lo_u32 v6, v5, s82                                   // 000000005878: D2850006 0000A505
	v_readlane_b32 s82, v3, 1                                  // 000000005880: D2890052 00010303
	s_lshr_b32 s61, s82, 24                                    // 000000005888: 8F3D9852
	s_and_b32 s82, s82, 0xffffff                               // 00000000588C: 8652FF52 00FFFFFF
	s_mul_i32 s82, s82, s71                                    // 000000005894: 92524752
	s_mul_i32 s61, s60, s61                                    // 000000005898: 923D3D3C
	s_add_u32 s82, s82, s61                                    // 00000000589C: 80523D52
	v_mul_lo_u32 v7, v4, s82                                   // 0000000058A0: D2850007 0000A504
	v_add_u32_e32 v46, v6, v7                                  // 0000000058A8: 685C0F06
	v_readlane_b32 s82, v3, 2                                  // 0000000058AC: D2890052 00010503
	s_lshr_b32 s61, s82, 24                                    // 0000000058B4: 8F3D9852
	s_and_b32 s82, s82, 0xffffff                               // 0000000058B8: 8652FF52 00FFFFFF
	s_mul_i32 s82, s82, s71                                    // 0000000058C0: 92524752
	s_mul_i32 s61, s60, s61                                    // 0000000058C4: 923D3D3C
	s_add_u32 s82, s82, s61                                    // 0000000058C8: 80523D52
	v_mul_lo_u32 v6, v5, s82                                   // 0000000058CC: D2850006 0000A505
	v_readlane_b32 s82, v3, 3                                  // 0000000058D4: D2890052 00010703
	s_lshr_b32 s61, s82, 24                                    // 0000000058DC: 8F3D9852
	s_and_b32 s82, s82, 0xffffff                               // 0000000058E0: 8652FF52 00FFFFFF
	s_mul_i32 s82, s82, s71                                    // 0000000058E8: 92524752
	s_mul_i32 s61, s60, s61                                    // 0000000058EC: 923D3D3C
	s_add_u32 s82, s82, s61                                    // 0000000058F0: 80523D52
	v_mul_lo_u32 v7, v4, s82                                   // 0000000058F4: D2850007 0000A504
	v_add_u32_e32 v47, v6, v7                                  // 0000000058FC: 685E0F06
	v_readlane_b32 s82, v3, 4                                  // 000000005900: D2890052 00010903
	s_lshr_b32 s61, s82, 24                                    // 000000005908: 8F3D9852
	s_and_b32 s82, s82, 0xffffff                               // 00000000590C: 8652FF52 00FFFFFF
	s_mul_i32 s82, s82, s71                                    // 000000005914: 92524752
	s_mul_i32 s61, s60, s61                                    // 000000005918: 923D3D3C
	s_add_u32 s82, s82, s61                                    // 00000000591C: 80523D52
	v_mul_lo_u32 v6, v5, s82                                   // 000000005920: D2850006 0000A505
	v_readlane_b32 s82, v3, 5                                  // 000000005928: D2890052 00010B03
	s_lshr_b32 s61, s82, 24                                    // 000000005930: 8F3D9852
	s_and_b32 s82, s82, 0xffffff                               // 000000005934: 8652FF52 00FFFFFF
	s_mul_i32 s82, s82, s71                                    // 00000000593C: 92524752
	s_mul_i32 s61, s60, s61                                    // 000000005940: 923D3D3C
	s_add_u32 s82, s82, s61                                    // 000000005944: 80523D52
	v_mul_lo_u32 v7, v4, s82                                   // 000000005948: D2850007 0000A504
	v_add_u32_e32 v48, v6, v7                                  // 000000005950: 68600F06
	v_readlane_b32 s82, v3, 6                                  // 000000005954: D2890052 00010D03
	s_lshr_b32 s61, s82, 24                                    // 00000000595C: 8F3D9852
	s_and_b32 s82, s82, 0xffffff                               // 000000005960: 8652FF52 00FFFFFF
	s_mul_i32 s82, s82, s71                                    // 000000005968: 92524752
	s_mul_i32 s61, s60, s61                                    // 00000000596C: 923D3D3C
	s_add_u32 s82, s82, s61                                    // 000000005970: 80523D52
	v_mul_lo_u32 v6, v5, s82                                   // 000000005974: D2850006 0000A505
	v_readlane_b32 s82, v3, 7                                  // 00000000597C: D2890052 00010F03
	s_lshr_b32 s61, s82, 24                                    // 000000005984: 8F3D9852
	s_and_b32 s82, s82, 0xffffff                               // 000000005988: 8652FF52 00FFFFFF
	s_mul_i32 s82, s82, s71                                    // 000000005990: 92524752
	s_mul_i32 s61, s60, s61                                    // 000000005994: 923D3D3C
	s_add_u32 s82, s82, s61                                    // 000000005998: 80523D52
	v_mul_lo_u32 v7, v4, s82                                   // 00000000599C: D2850007 0000A504
	v_add_u32_e32 v49, v6, v7                                  // 0000000059A4: 68620F06
	v_readlane_b32 s82, v3, 8                                  // 0000000059A8: D2890052 00011103
	s_lshr_b32 s61, s82, 24                                    // 0000000059B0: 8F3D9852
	s_and_b32 s82, s82, 0xffffff                               // 0000000059B4: 8652FF52 00FFFFFF
	s_mul_i32 s82, s82, s71                                    // 0000000059BC: 92524752
	s_mul_i32 s61, s60, s61                                    // 0000000059C0: 923D3D3C
	s_add_u32 s82, s82, s61                                    // 0000000059C4: 80523D52
	v_mul_lo_u32 v6, v5, s82                                   // 0000000059C8: D2850006 0000A505
	v_readlane_b32 s82, v3, 9                                  // 0000000059D0: D2890052 00011303
	s_lshr_b32 s61, s82, 24                                    // 0000000059D8: 8F3D9852
	s_and_b32 s82, s82, 0xffffff                               // 0000000059DC: 8652FF52 00FFFFFF
	s_mul_i32 s82, s82, s71                                    // 0000000059E4: 92524752
	s_mul_i32 s61, s60, s61                                    // 0000000059E8: 923D3D3C
	s_add_u32 s82, s82, s61                                    // 0000000059EC: 80523D52
	v_mul_lo_u32 v7, v4, s82                                   // 0000000059F0: D2850007 0000A504
	v_add_u32_e32 v50, v6, v7                                  // 0000000059F8: 68640F06
	v_readlane_b32 s82, v3, 10                                 // 0000000059FC: D2890052 00011503
	s_lshr_b32 s61, s82, 24                                    // 000000005A04: 8F3D9852
	s_and_b32 s82, s82, 0xffffff                               // 000000005A08: 8652FF52 00FFFFFF
	s_mul_i32 s82, s82, s71                                    // 000000005A10: 92524752
	s_mul_i32 s61, s60, s61                                    // 000000005A14: 923D3D3C
	s_add_u32 s82, s82, s61                                    // 000000005A18: 80523D52
	v_mul_lo_u32 v6, v5, s82                                   // 000000005A1C: D2850006 0000A505
	v_readlane_b32 s82, v3, 11                                 // 000000005A24: D2890052 00011703
	s_lshr_b32 s61, s82, 24                                    // 000000005A2C: 8F3D9852
	s_and_b32 s82, s82, 0xffffff                               // 000000005A30: 8652FF52 00FFFFFF
	s_mul_i32 s82, s82, s71                                    // 000000005A38: 92524752
	s_mul_i32 s61, s60, s61                                    // 000000005A3C: 923D3D3C
	s_add_u32 s82, s82, s61                                    // 000000005A40: 80523D52
	v_mul_lo_u32 v7, v4, s82                                   // 000000005A44: D2850007 0000A504
	v_add_u32_e32 v51, v6, v7                                  // 000000005A4C: 68660F06
	v_readlane_b32 s82, v3, 12                                 // 000000005A50: D2890052 00011903
	s_lshr_b32 s61, s82, 24                                    // 000000005A58: 8F3D9852
	s_and_b32 s82, s82, 0xffffff                               // 000000005A5C: 8652FF52 00FFFFFF
	s_mul_i32 s82, s82, s71                                    // 000000005A64: 92524752
	s_mul_i32 s61, s60, s61                                    // 000000005A68: 923D3D3C
	s_add_u32 s82, s82, s61                                    // 000000005A6C: 80523D52
	v_mul_lo_u32 v6, v5, s82                                   // 000000005A70: D2850006 0000A505
	v_readlane_b32 s82, v3, 13                                 // 000000005A78: D2890052 00011B03
	s_lshr_b32 s61, s82, 24                                    // 000000005A80: 8F3D9852
	s_and_b32 s82, s82, 0xffffff                               // 000000005A84: 8652FF52 00FFFFFF
	s_mul_i32 s82, s82, s71                                    // 000000005A8C: 92524752
	s_mul_i32 s61, s60, s61                                    // 000000005A90: 923D3D3C
	s_add_u32 s82, s82, s61                                    // 000000005A94: 80523D52
	v_mul_lo_u32 v7, v4, s82                                   // 000000005A98: D2850007 0000A504
	v_add_u32_e32 v52, v6, v7                                  // 000000005AA0: 68680F06
	v_readlane_b32 s82, v3, 14                                 // 000000005AA4: D2890052 00011D03
	s_lshr_b32 s61, s82, 24                                    // 000000005AAC: 8F3D9852
	s_and_b32 s82, s82, 0xffffff                               // 000000005AB0: 8652FF52 00FFFFFF
	s_mul_i32 s82, s82, s71                                    // 000000005AB8: 92524752
	s_mul_i32 s61, s60, s61                                    // 000000005ABC: 923D3D3C
	s_add_u32 s82, s82, s61                                    // 000000005AC0: 80523D52
	v_mul_lo_u32 v6, v5, s82                                   // 000000005AC4: D2850006 0000A505
	v_readlane_b32 s82, v3, 15                                 // 000000005ACC: D2890052 00011F03
	s_lshr_b32 s61, s82, 24                                    // 000000005AD4: 8F3D9852
	s_and_b32 s82, s82, 0xffffff                               // 000000005AD8: 8652FF52 00FFFFFF
	s_mul_i32 s82, s82, s71                                    // 000000005AE0: 92524752
	s_mul_i32 s61, s60, s61                                    // 000000005AE4: 923D3D3C
	s_add_u32 s82, s82, s61                                    // 000000005AE8: 80523D52
	v_mul_lo_u32 v7, v4, s82                                   // 000000005AEC: D2850007 0000A504
	v_add_u32_e32 v53, v6, v7                                  // 000000005AF4: 686A0F06
	v_and_b32_e32 v4, 31, v0                                   // 000000005AF8: 2608009F
	v_lshrrev_b32_e32 v4, 1, v4                                // 000000005AFC: 20080881
	s_cmp_eq_u32 s88, 0                                        // 000000005B00: BF068058
	s_cselect_b32 s61, 2, 4                                    // 000000005B04: 853D8482
	v_mul_lo_u32 v4, v4, s61                                   // 000000005B08: D2850004 00007B04
	v_and_b32_e64 v5, v0, 1                                    // 000000005B10: D1130005 00010300
	v_add_u32_e32 v4, v4, v5                                   // 000000005B18: 68080B04
	v_lshlrev_b32_e32 v4, 2, v4                                // 000000005B1C: 24080882
	v_add_u32_e32 v46, v46, v4                                 // 000000005B20: 685C092E
	v_add_u32_e32 v47, v47, v4                                 // 000000005B24: 685E092F
	v_add_u32_e32 v48, v48, v4                                 // 000000005B28: 68600930
	v_add_u32_e32 v49, v49, v4                                 // 000000005B2C: 68620931
	v_add_u32_e32 v50, v50, v4                                 // 000000005B30: 68640932
	v_add_u32_e32 v51, v51, v4                                 // 000000005B34: 68660933
	v_add_u32_e32 v52, v52, v4                                 // 000000005B38: 68680934
	v_add_u32_e32 v53, v53, v4                                 // 000000005B3C: 686A0935
	s_waitcnt lgkmcnt(0)                                       // 000000005B40: BF8CC07F
	s_barrier                                                  // 000000005B44: BF8A0000
	ds_read_b32 v56, v21                                       // 000000005B48: D86C0000 38000015
	ds_read_b32 v57, v21 offset:64                             // 000000005B50: D86C0040 39000015
	ds_read_b32 v58, v21 offset:2176                           // 000000005B58: D86C0880 3A000015
	ds_read_b32 v59, v21 offset:2240                           // 000000005B60: D86C08C0 3B000015
	ds_read_b32 v60, v21 offset:4352                           // 000000005B68: D86C1100 3C000015
	ds_read_b32 v61, v21 offset:4416                           // 000000005B70: D86C1140 3D000015
	ds_read_b32 v62, v21 offset:6528                           // 000000005B78: D86C1980 3E000015
	ds_read_b32 v63, v21 offset:6592                           // 000000005B80: D86C19C0 3F000015
	ds_read_b32 v64, v21 offset:8704                           // 000000005B88: D86C2200 40000015
	ds_read_b32 v65, v21 offset:8768                           // 000000005B90: D86C2240 41000015
	ds_read_b32 v66, v21 offset:10880                          // 000000005B98: D86C2A80 42000015
	ds_read_b32 v67, v21 offset:10944                          // 000000005BA0: D86C2AC0 43000015
	ds_read_b32 v68, v21 offset:13056                          // 000000005BA8: D86C3300 44000015
	ds_read_b32 v69, v21 offset:13120                          // 000000005BB0: D86C3340 45000015
	ds_read_b32 v70, v21 offset:15232                          // 000000005BB8: D86C3B80 46000015
	ds_read_b32 v71, v21 offset:15296                          // 000000005BC0: D86C3BC0 47000015
	s_waitcnt lgkmcnt(0)                                       // 000000005BC8: BF8CC07F
	s_mov_b32 s36, -1                                          // 000000005BCC: BEA400C1
	s_mov_b32 s37, -1                                          // 000000005BD0: BEA500C1
	v_mov_b32_e32 v7, 0                                        // 000000005BD4: 7E0E0280
	s_or_b32 s9, s9, 0x40000                                   // 000000005BD8: 8709FF09 00040000
	s_mov_b64 exec, s[36:37]                                   // 000000005BE0: BEFE0124
	v_mov_b32_e32 v6, v46                                      // 000000005BE4: 7E0C032E
	s_mov_b64 s[60:61], 0                                      // 000000005BE8: BEBC0180
	v_readlane_b32 s82, v3, 0                                  // 000000005BEC: D2890052 00010103
	s_and_b32 s82, s82, 0xffffff                               // 000000005BF4: 8652FF52 00FFFFFF
	s_cmp_lt_u32 s82, s66                                      // 000000005BFC: BF0A4252
	s_cselect_b32 s20, s36, s60                                // 000000005C00: 85143C24
	v_readlane_b32 s82, v3, 1                                  // 000000005C04: D2890052 00010303
	s_and_b32 s82, s82, 0xffffff                               // 000000005C0C: 8652FF52 00FFFFFF
	s_cmp_lt_u32 s82, s66                                      // 000000005C14: BF0A4252
	s_cselect_b32 s21, s36, s60                                // 000000005C18: 85153C24
	s_mov_b64 exec, s[20:21]                                   // 000000005C1C: BEFE0114
	buffer_store_dword v56, v6, s[8:11], 0 offen               // 000000005C20: E0701000 80023806
	buffer_store_dword v58, v6, s[8:11], 0 offen offset:128    // 000000005C28: E0701080 80023A06
	s_mov_b64 exec, s[36:37]                                   // 000000005C30: BEFE0124
	v_mov_b32_e32 v6, v47                                      // 000000005C34: 7E0C032F
	s_mov_b64 s[60:61], 0                                      // 000000005C38: BEBC0180
	v_readlane_b32 s82, v3, 2                                  // 000000005C3C: D2890052 00010503
	s_and_b32 s82, s82, 0xffffff                               // 000000005C44: 8652FF52 00FFFFFF
	s_cmp_lt_u32 s82, s66                                      // 000000005C4C: BF0A4252
	s_cselect_b32 s20, s36, s60                                // 000000005C50: 85143C24
	v_readlane_b32 s82, v3, 3                                  // 000000005C54: D2890052 00010703
	s_and_b32 s82, s82, 0xffffff                               // 000000005C5C: 8652FF52 00FFFFFF
	s_cmp_lt_u32 s82, s66                                      // 000000005C64: BF0A4252
	s_cselect_b32 s21, s36, s60                                // 000000005C68: 85153C24
	s_mov_b64 exec, s[20:21]                                   // 000000005C6C: BEFE0114
	buffer_store_dword v57, v6, s[8:11], 0 offen               // 000000005C70: E0701000 80023906
	buffer_store_dword v59, v6, s[8:11], 0 offen offset:128    // 000000005C78: E0701080 80023B06
	s_mov_b64 exec, s[36:37]                                   // 000000005C80: BEFE0124
	v_mov_b32_e32 v6, v48                                      // 000000005C84: 7E0C0330
	s_mov_b64 s[60:61], 0                                      // 000000005C88: BEBC0180
	v_readlane_b32 s82, v3, 4                                  // 000000005C8C: D2890052 00010903
	s_and_b32 s82, s82, 0xffffff                               // 000000005C94: 8652FF52 00FFFFFF
	s_cmp_lt_u32 s82, s66                                      // 000000005C9C: BF0A4252
	s_cselect_b32 s20, s36, s60                                // 000000005CA0: 85143C24
	v_readlane_b32 s82, v3, 5                                  // 000000005CA4: D2890052 00010B03
	s_and_b32 s82, s82, 0xffffff                               // 000000005CAC: 8652FF52 00FFFFFF
	s_cmp_lt_u32 s82, s66                                      // 000000005CB4: BF0A4252
	s_cselect_b32 s21, s36, s60                                // 000000005CB8: 85153C24
	s_mov_b64 exec, s[20:21]                                   // 000000005CBC: BEFE0114
	buffer_store_dword v60, v6, s[8:11], 0 offen               // 000000005CC0: E0701000 80023C06
	buffer_store_dword v62, v6, s[8:11], 0 offen offset:128    // 000000005CC8: E0701080 80023E06
	s_mov_b64 exec, s[36:37]                                   // 000000005CD0: BEFE0124
	v_mov_b32_e32 v6, v49                                      // 000000005CD4: 7E0C0331
	s_mov_b64 s[60:61], 0                                      // 000000005CD8: BEBC0180
	v_readlane_b32 s82, v3, 6                                  // 000000005CDC: D2890052 00010D03
	s_and_b32 s82, s82, 0xffffff                               // 000000005CE4: 8652FF52 00FFFFFF
	s_cmp_lt_u32 s82, s66                                      // 000000005CEC: BF0A4252
	s_cselect_b32 s20, s36, s60                                // 000000005CF0: 85143C24
	v_readlane_b32 s82, v3, 7                                  // 000000005CF4: D2890052 00010F03
	s_and_b32 s82, s82, 0xffffff                               // 000000005CFC: 8652FF52 00FFFFFF
	s_cmp_lt_u32 s82, s66                                      // 000000005D04: BF0A4252
	s_cselect_b32 s21, s36, s60                                // 000000005D08: 85153C24
	s_mov_b64 exec, s[20:21]                                   // 000000005D0C: BEFE0114
	buffer_store_dword v61, v6, s[8:11], 0 offen               // 000000005D10: E0701000 80023D06
	buffer_store_dword v63, v6, s[8:11], 0 offen offset:128    // 000000005D18: E0701080 80023F06
	s_mov_b64 exec, s[36:37]                                   // 000000005D20: BEFE0124
	v_mov_b32_e32 v6, v50                                      // 000000005D24: 7E0C0332
	s_mov_b64 s[60:61], 0                                      // 000000005D28: BEBC0180
	v_readlane_b32 s82, v3, 8                                  // 000000005D2C: D2890052 00011103
	s_and_b32 s82, s82, 0xffffff                               // 000000005D34: 8652FF52 00FFFFFF
	s_cmp_lt_u32 s82, s66                                      // 000000005D3C: BF0A4252
	s_cselect_b32 s20, s36, s60                                // 000000005D40: 85143C24
	v_readlane_b32 s82, v3, 9                                  // 000000005D44: D2890052 00011303
	s_and_b32 s82, s82, 0xffffff                               // 000000005D4C: 8652FF52 00FFFFFF
	s_cmp_lt_u32 s82, s66                                      // 000000005D54: BF0A4252
	s_cselect_b32 s21, s36, s60                                // 000000005D58: 85153C24
	s_mov_b64 exec, s[20:21]                                   // 000000005D5C: BEFE0114
	buffer_store_dword v64, v6, s[8:11], 0 offen               // 000000005D60: E0701000 80024006
	buffer_store_dword v66, v6, s[8:11], 0 offen offset:128    // 000000005D68: E0701080 80024206
	s_mov_b64 exec, s[36:37]                                   // 000000005D70: BEFE0124
	v_mov_b32_e32 v6, v51                                      // 000000005D74: 7E0C0333
	s_mov_b64 s[60:61], 0                                      // 000000005D78: BEBC0180
	v_readlane_b32 s82, v3, 10                                 // 000000005D7C: D2890052 00011503
	s_and_b32 s82, s82, 0xffffff                               // 000000005D84: 8652FF52 00FFFFFF
	s_cmp_lt_u32 s82, s66                                      // 000000005D8C: BF0A4252
	s_cselect_b32 s20, s36, s60                                // 000000005D90: 85143C24
	v_readlane_b32 s82, v3, 11                                 // 000000005D94: D2890052 00011703
	s_and_b32 s82, s82, 0xffffff                               // 000000005D9C: 8652FF52 00FFFFFF
	s_cmp_lt_u32 s82, s66                                      // 000000005DA4: BF0A4252
	s_cselect_b32 s21, s36, s60                                // 000000005DA8: 85153C24
	s_mov_b64 exec, s[20:21]                                   // 000000005DAC: BEFE0114
	buffer_store_dword v65, v6, s[8:11], 0 offen               // 000000005DB0: E0701000 80024106
	buffer_store_dword v67, v6, s[8:11], 0 offen offset:128    // 000000005DB8: E0701080 80024306
	s_mov_b64 exec, s[36:37]                                   // 000000005DC0: BEFE0124
	v_mov_b32_e32 v6, v52                                      // 000000005DC4: 7E0C0334
	s_mov_b64 s[60:61], 0                                      // 000000005DC8: BEBC0180
	v_readlane_b32 s82, v3, 12                                 // 000000005DCC: D2890052 00011903
	s_and_b32 s82, s82, 0xffffff                               // 000000005DD4: 8652FF52 00FFFFFF
	s_cmp_lt_u32 s82, s66                                      // 000000005DDC: BF0A4252
	s_cselect_b32 s20, s36, s60                                // 000000005DE0: 85143C24
	v_readlane_b32 s82, v3, 13                                 // 000000005DE4: D2890052 00011B03
	s_and_b32 s82, s82, 0xffffff                               // 000000005DEC: 8652FF52 00FFFFFF
	s_cmp_lt_u32 s82, s66                                      // 000000005DF4: BF0A4252
	s_cselect_b32 s21, s36, s60                                // 000000005DF8: 85153C24
	s_mov_b64 exec, s[20:21]                                   // 000000005DFC: BEFE0114
	buffer_store_dword v68, v6, s[8:11], 0 offen               // 000000005E00: E0701000 80024406
	buffer_store_dword v70, v6, s[8:11], 0 offen offset:128    // 000000005E08: E0701080 80024606
	s_mov_b64 exec, s[36:37]                                   // 000000005E10: BEFE0124
	v_mov_b32_e32 v6, v53                                      // 000000005E14: 7E0C0335
	s_mov_b64 s[60:61], 0                                      // 000000005E18: BEBC0180
	v_readlane_b32 s82, v3, 14                                 // 000000005E1C: D2890052 00011D03
	s_and_b32 s82, s82, 0xffffff                               // 000000005E24: 8652FF52 00FFFFFF
	s_cmp_lt_u32 s82, s66                                      // 000000005E2C: BF0A4252
	s_cselect_b32 s20, s36, s60                                // 000000005E30: 85143C24
	v_readlane_b32 s82, v3, 15                                 // 000000005E34: D2890052 00011F03
	s_and_b32 s82, s82, 0xffffff                               // 000000005E3C: 8652FF52 00FFFFFF
	s_cmp_lt_u32 s82, s66                                      // 000000005E44: BF0A4252
	s_cselect_b32 s21, s36, s60                                // 000000005E48: 85153C24
	s_mov_b64 exec, s[20:21]                                   // 000000005E4C: BEFE0114
	buffer_store_dword v69, v6, s[8:11], 0 offen               // 000000005E50: E0701000 80024506
	buffer_store_dword v71, v6, s[8:11], 0 offen offset:128    // 000000005E58: E0701080 80024706
	s_mov_b64 exec, s[36:37]                                   // 000000005E60: BEFE0124
	s_branch label_1FEB                                        // 000000005E64: BF8212CE

0000000000005e68 <label_0D1A>:
	ds_write_b64 v20, v[56:57]                                 // 000000005E68: D89A0000 00003814
	ds_write_b64 v20, v[60:61] offset:4352                     // 000000005E70: D89A1100 00003C14
	ds_write_b64 v20, v[64:65] offset:8704                     // 000000005E78: D89A2200 00004014
	ds_write_b64 v20, v[68:69] offset:13056                    // 000000005E80: D89A3300 00004414
	ds_write_b64 v20, v[72:73] offset:2176                     // 000000005E88: D89A0880 00004814
	ds_write_b64 v20, v[76:77] offset:6528                     // 000000005E90: D89A1980 00004C14
	ds_write_b64 v20, v[80:81] offset:10880                    // 000000005E98: D89A2A80 00005014
	ds_write_b64 v20, v[84:85] offset:15232                    // 000000005EA0: D89A3B80 00005414
	v_lshrrev_b32_e32 v4, 5, v0                                // 000000005EA8: 20080085
	v_xor_b32_e32 v5, 1, v4                                    // 000000005EAC: 2A0A0881
	s_mul_i32 s60, s65, 2                                      // 000000005EB0: 923C8241
	s_cmp_eq_u32 s88, 0                                        // 000000005EB4: BF068058
	s_cselect_b32 s61, 1, 4                                    // 000000005EB8: 853D8481
	s_mul_i32 s60, s61, s60                                    // 000000005EBC: 923C3C3D
	v_readlane_b32 s82, v3, 0                                  // 000000005EC0: D2890052 00010103
	s_lshr_b32 s61, s82, 24                                    // 000000005EC8: 8F3D9852
	s_and_b32 s82, s82, 0xffffff                               // 000000005ECC: 8652FF52 00FFFFFF
	s_mul_i32 s82, s82, s71                                    // 000000005ED4: 92524752
	s_mul_i32 s61, s60, s61                                    // 000000005ED8: 923D3D3C
	s_add_u32 s82, s82, s61                                    // 000000005EDC: 80523D52
	v_mul_lo_u32 v6, v5, s82                                   // 000000005EE0: D2850006 0000A505
	v_readlane_b32 s82, v3, 1                                  // 000000005EE8: D2890052 00010303
	s_lshr_b32 s61, s82, 24                                    // 000000005EF0: 8F3D9852
	s_and_b32 s82, s82, 0xffffff                               // 000000005EF4: 8652FF52 00FFFFFF
	s_mul_i32 s82, s82, s71                                    // 000000005EFC: 92524752
	s_mul_i32 s61, s60, s61                                    // 000000005F00: 923D3D3C
	s_add_u32 s82, s82, s61                                    // 000000005F04: 80523D52
	v_mul_lo_u32 v7, v4, s82                                   // 000000005F08: D2850007 0000A504
	v_add_u32_e32 v46, v6, v7                                  // 000000005F10: 685C0F06
	v_readlane_b32 s82, v3, 2                                  // 000000005F14: D2890052 00010503
	s_lshr_b32 s61, s82, 24                                    // 000000005F1C: 8F3D9852
	s_and_b32 s82, s82, 0xffffff                               // 000000005F20: 8652FF52 00FFFFFF
	s_mul_i32 s82, s82, s71                                    // 000000005F28: 92524752
	s_mul_i32 s61, s60, s61                                    // 000000005F2C: 923D3D3C
	s_add_u32 s82, s82, s61                                    // 000000005F30: 80523D52
	v_mul_lo_u32 v6, v5, s82                                   // 000000005F34: D2850006 0000A505
	v_readlane_b32 s82, v3, 3                                  // 000000005F3C: D2890052 00010703
	s_lshr_b32 s61, s82, 24                                    // 000000005F44: 8F3D9852
	s_and_b32 s82, s82, 0xffffff                               // 000000005F48: 8652FF52 00FFFFFF
	s_mul_i32 s82, s82, s71                                    // 000000005F50: 92524752
	s_mul_i32 s61, s60, s61                                    // 000000005F54: 923D3D3C
	s_add_u32 s82, s82, s61                                    // 000000005F58: 80523D52
	v_mul_lo_u32 v7, v4, s82                                   // 000000005F5C: D2850007 0000A504
	v_add_u32_e32 v47, v6, v7                                  // 000000005F64: 685E0F06
	v_readlane_b32 s82, v3, 4                                  // 000000005F68: D2890052 00010903
	s_lshr_b32 s61, s82, 24                                    // 000000005F70: 8F3D9852
	s_and_b32 s82, s82, 0xffffff                               // 000000005F74: 8652FF52 00FFFFFF
	s_mul_i32 s82, s82, s71                                    // 000000005F7C: 92524752
	s_mul_i32 s61, s60, s61                                    // 000000005F80: 923D3D3C
	s_add_u32 s82, s82, s61                                    // 000000005F84: 80523D52
	v_mul_lo_u32 v6, v5, s82                                   // 000000005F88: D2850006 0000A505
	v_readlane_b32 s82, v3, 5                                  // 000000005F90: D2890052 00010B03
	s_lshr_b32 s61, s82, 24                                    // 000000005F98: 8F3D9852
	s_and_b32 s82, s82, 0xffffff                               // 000000005F9C: 8652FF52 00FFFFFF
	s_mul_i32 s82, s82, s71                                    // 000000005FA4: 92524752
	s_mul_i32 s61, s60, s61                                    // 000000005FA8: 923D3D3C
	s_add_u32 s82, s82, s61                                    // 000000005FAC: 80523D52
	v_mul_lo_u32 v7, v4, s82                                   // 000000005FB0: D2850007 0000A504
	v_add_u32_e32 v48, v6, v7                                  // 000000005FB8: 68600F06
	v_readlane_b32 s82, v3, 6                                  // 000000005FBC: D2890052 00010D03
	s_lshr_b32 s61, s82, 24                                    // 000000005FC4: 8F3D9852
	s_and_b32 s82, s82, 0xffffff                               // 000000005FC8: 8652FF52 00FFFFFF
	s_mul_i32 s82, s82, s71                                    // 000000005FD0: 92524752
	s_mul_i32 s61, s60, s61                                    // 000000005FD4: 923D3D3C
	s_add_u32 s82, s82, s61                                    // 000000005FD8: 80523D52
	v_mul_lo_u32 v6, v5, s82                                   // 000000005FDC: D2850006 0000A505
	v_readlane_b32 s82, v3, 7                                  // 000000005FE4: D2890052 00010F03
	s_lshr_b32 s61, s82, 24                                    // 000000005FEC: 8F3D9852
	s_and_b32 s82, s82, 0xffffff                               // 000000005FF0: 8652FF52 00FFFFFF
	s_mul_i32 s82, s82, s71                                    // 000000005FF8: 92524752
	s_mul_i32 s61, s60, s61                                    // 000000005FFC: 923D3D3C
	s_add_u32 s82, s82, s61                                    // 000000006000: 80523D52
	v_mul_lo_u32 v7, v4, s82                                   // 000000006004: D2850007 0000A504
	v_add_u32_e32 v49, v6, v7                                  // 00000000600C: 68620F06
	v_readlane_b32 s82, v3, 8                                  // 000000006010: D2890052 00011103
	s_lshr_b32 s61, s82, 24                                    // 000000006018: 8F3D9852
	s_and_b32 s82, s82, 0xffffff                               // 00000000601C: 8652FF52 00FFFFFF
	s_mul_i32 s82, s82, s71                                    // 000000006024: 92524752
	s_mul_i32 s61, s60, s61                                    // 000000006028: 923D3D3C
	s_add_u32 s82, s82, s61                                    // 00000000602C: 80523D52
	v_mul_lo_u32 v6, v5, s82                                   // 000000006030: D2850006 0000A505
	v_readlane_b32 s82, v3, 9                                  // 000000006038: D2890052 00011303
	s_lshr_b32 s61, s82, 24                                    // 000000006040: 8F3D9852
	s_and_b32 s82, s82, 0xffffff                               // 000000006044: 8652FF52 00FFFFFF
	s_mul_i32 s82, s82, s71                                    // 00000000604C: 92524752
	s_mul_i32 s61, s60, s61                                    // 000000006050: 923D3D3C
	s_add_u32 s82, s82, s61                                    // 000000006054: 80523D52
	v_mul_lo_u32 v7, v4, s82                                   // 000000006058: D2850007 0000A504
	v_add_u32_e32 v50, v6, v7                                  // 000000006060: 68640F06
	v_readlane_b32 s82, v3, 10                                 // 000000006064: D2890052 00011503
	s_lshr_b32 s61, s82, 24                                    // 00000000606C: 8F3D9852
	s_and_b32 s82, s82, 0xffffff                               // 000000006070: 8652FF52 00FFFFFF
	s_mul_i32 s82, s82, s71                                    // 000000006078: 92524752
	s_mul_i32 s61, s60, s61                                    // 00000000607C: 923D3D3C
	s_add_u32 s82, s82, s61                                    // 000000006080: 80523D52
	v_mul_lo_u32 v6, v5, s82                                   // 000000006084: D2850006 0000A505
	v_readlane_b32 s82, v3, 11                                 // 00000000608C: D2890052 00011703
	s_lshr_b32 s61, s82, 24                                    // 000000006094: 8F3D9852
	s_and_b32 s82, s82, 0xffffff                               // 000000006098: 8652FF52 00FFFFFF
	s_mul_i32 s82, s82, s71                                    // 0000000060A0: 92524752
	s_mul_i32 s61, s60, s61                                    // 0000000060A4: 923D3D3C
	s_add_u32 s82, s82, s61                                    // 0000000060A8: 80523D52
	v_mul_lo_u32 v7, v4, s82                                   // 0000000060AC: D2850007 0000A504
	v_add_u32_e32 v51, v6, v7                                  // 0000000060B4: 68660F06
	v_readlane_b32 s82, v3, 12                                 // 0000000060B8: D2890052 00011903
	s_lshr_b32 s61, s82, 24                                    // 0000000060C0: 8F3D9852
	s_and_b32 s82, s82, 0xffffff                               // 0000000060C4: 8652FF52 00FFFFFF
	s_mul_i32 s82, s82, s71                                    // 0000000060CC: 92524752
	s_mul_i32 s61, s60, s61                                    // 0000000060D0: 923D3D3C
	s_add_u32 s82, s82, s61                                    // 0000000060D4: 80523D52
	v_mul_lo_u32 v6, v5, s82                                   // 0000000060D8: D2850006 0000A505
	v_readlane_b32 s82, v3, 13                                 // 0000000060E0: D2890052 00011B03
	s_lshr_b32 s61, s82, 24                                    // 0000000060E8: 8F3D9852
	s_and_b32 s82, s82, 0xffffff                               // 0000000060EC: 8652FF52 00FFFFFF
	s_mul_i32 s82, s82, s71                                    // 0000000060F4: 92524752
	s_mul_i32 s61, s60, s61                                    // 0000000060F8: 923D3D3C
	s_add_u32 s82, s82, s61                                    // 0000000060FC: 80523D52
	v_mul_lo_u32 v7, v4, s82                                   // 000000006100: D2850007 0000A504
	v_add_u32_e32 v52, v6, v7                                  // 000000006108: 68680F06
	v_readlane_b32 s82, v3, 14                                 // 00000000610C: D2890052 00011D03
	s_lshr_b32 s61, s82, 24                                    // 000000006114: 8F3D9852
	s_and_b32 s82, s82, 0xffffff                               // 000000006118: 8652FF52 00FFFFFF
	s_mul_i32 s82, s82, s71                                    // 000000006120: 92524752
	s_mul_i32 s61, s60, s61                                    // 000000006124: 923D3D3C
	s_add_u32 s82, s82, s61                                    // 000000006128: 80523D52
	v_mul_lo_u32 v6, v5, s82                                   // 00000000612C: D2850006 0000A505
	v_readlane_b32 s82, v3, 15                                 // 000000006134: D2890052 00011F03
	s_lshr_b32 s61, s82, 24                                    // 00000000613C: 8F3D9852
	s_and_b32 s82, s82, 0xffffff                               // 000000006140: 8652FF52 00FFFFFF
	s_mul_i32 s82, s82, s71                                    // 000000006148: 92524752
	s_mul_i32 s61, s60, s61                                    // 00000000614C: 923D3D3C
	s_add_u32 s82, s82, s61                                    // 000000006150: 80523D52
	v_mul_lo_u32 v7, v4, s82                                   // 000000006154: D2850007 0000A504
	v_add_u32_e32 v53, v6, v7                                  // 00000000615C: 686A0F06
	v_and_b32_e32 v4, 31, v0                                   // 000000006160: 2608009F
	v_lshrrev_b32_e32 v4, 1, v4                                // 000000006164: 20080881
	s_cmp_eq_u32 s88, 0                                        // 000000006168: BF068058
	s_cselect_b32 s61, 2, 4                                    // 00000000616C: 853D8482
	v_mul_lo_u32 v4, v4, s61                                   // 000000006170: D2850004 00007B04
	v_and_b32_e64 v5, v0, 1                                    // 000000006178: D1130005 00010300
	v_add_u32_e32 v4, v4, v5                                   // 000000006180: 68080B04
	v_lshlrev_b32_e32 v4, 2, v4                                // 000000006184: 24080882
	v_add_u32_e32 v46, v46, v4                                 // 000000006188: 685C092E
	v_add_u32_e32 v47, v47, v4                                 // 00000000618C: 685E092F
	v_add_u32_e32 v48, v48, v4                                 // 000000006190: 68600930
	v_add_u32_e32 v49, v49, v4                                 // 000000006194: 68620931
	;; [unrolled: 1-line block ×3, first 2 shown]
	v_add_u32_e32 v51, v51, v4                                 // 00000000619C: 68660933
	v_add_u32_e32 v52, v52, v4                                 // 0000000061A0: 68680934
	v_add_u32_e32 v53, v53, v4                                 // 0000000061A4: 686A0935
	s_waitcnt lgkmcnt(0)                                       // 0000000061A8: BF8CC07F
	s_barrier                                                  // 0000000061AC: BF8A0000
	ds_read_b32 v56, v21                                       // 0000000061B0: D86C0000 38000015
	ds_read_b32 v57, v21 offset:64                             // 0000000061B8: D86C0040 39000015
	ds_read_b32 v60, v21 offset:2176                           // 0000000061C0: D86C0880 3C000015
	ds_read_b32 v61, v21 offset:2240                           // 0000000061C8: D86C08C0 3D000015
	ds_read_b32 v64, v21 offset:4352                           // 0000000061D0: D86C1100 40000015
	ds_read_b32 v65, v21 offset:4416                           // 0000000061D8: D86C1140 41000015
	ds_read_b32 v68, v21 offset:6528                           // 0000000061E0: D86C1980 44000015
	ds_read_b32 v69, v21 offset:6592                           // 0000000061E8: D86C19C0 45000015
	ds_read_b32 v72, v21 offset:8704                           // 0000000061F0: D86C2200 48000015
	ds_read_b32 v73, v21 offset:8768                           // 0000000061F8: D86C2240 49000015
	ds_read_b32 v76, v21 offset:10880                          // 000000006200: D86C2A80 4C000015
	ds_read_b32 v77, v21 offset:10944                          // 000000006208: D86C2AC0 4D000015
	ds_read_b32 v80, v21 offset:13056                          // 000000006210: D86C3300 50000015
	ds_read_b32 v81, v21 offset:13120                          // 000000006218: D86C3340 51000015
	ds_read_b32 v84, v21 offset:15232                          // 000000006220: D86C3B80 54000015
	ds_read_b32 v85, v21 offset:15296                          // 000000006228: D86C3BC0 55000015
	s_waitcnt lgkmcnt(0)                                       // 000000006230: BF8CC07F
	s_mov_b32 s36, -1                                          // 000000006234: BEA400C1
	s_mov_b32 s37, -1                                          // 000000006238: BEA500C1
	v_mov_b32_e32 v7, 0                                        // 00000000623C: 7E0E0280
	s_mov_b64 exec, s[36:37]                                   // 000000006240: BEFE0124
	v_mov_b32_e32 v6, v46                                      // 000000006244: 7E0C032E
	s_mov_b64 s[60:61], 0                                      // 000000006248: BEBC0180
	v_readlane_b32 s82, v3, 0                                  // 00000000624C: D2890052 00010103
	s_and_b32 s82, s82, 0xffffff                               // 000000006254: 8652FF52 00FFFFFF
	s_cmp_lt_u32 s82, s66                                      // 00000000625C: BF0A4252
	s_cselect_b32 s20, s36, s60                                // 000000006260: 85143C24
	v_readlane_b32 s82, v3, 1                                  // 000000006264: D2890052 00010303
	s_and_b32 s82, s82, 0xffffff                               // 00000000626C: 8652FF52 00FFFFFF
	s_cmp_lt_u32 s82, s66                                      // 000000006274: BF0A4252
	s_cselect_b32 s21, s36, s60                                // 000000006278: 85153C24
	s_mov_b64 exec, s[20:21]                                   // 00000000627C: BEFE0114
	global_atomic_add_f32 v6, v56, s[8:9]                      // 000000006280: DD348000 00083806
	global_atomic_add_f32 v6, v60, s[8:9] offset:256           // 000000006288: DD348100 00083C06
	s_mov_b64 exec, s[36:37]                                   // 000000006290: BEFE0124
	v_mov_b32_e32 v6, v47                                      // 000000006294: 7E0C032F
	s_mov_b64 s[60:61], 0                                      // 000000006298: BEBC0180
	v_readlane_b32 s82, v3, 2                                  // 00000000629C: D2890052 00010503
	s_and_b32 s82, s82, 0xffffff                               // 0000000062A4: 8652FF52 00FFFFFF
	s_cmp_lt_u32 s82, s66                                      // 0000000062AC: BF0A4252
	s_cselect_b32 s20, s36, s60                                // 0000000062B0: 85143C24
	v_readlane_b32 s82, v3, 3                                  // 0000000062B4: D2890052 00010703
	s_and_b32 s82, s82, 0xffffff                               // 0000000062BC: 8652FF52 00FFFFFF
	s_cmp_lt_u32 s82, s66                                      // 0000000062C4: BF0A4252
	s_cselect_b32 s21, s36, s60                                // 0000000062C8: 85153C24
	s_mov_b64 exec, s[20:21]                                   // 0000000062CC: BEFE0114
	global_atomic_add_f32 v6, v57, s[8:9]                      // 0000000062D0: DD348000 00083906
	global_atomic_add_f32 v6, v61, s[8:9] offset:256           // 0000000062D8: DD348100 00083D06
	s_mov_b64 exec, s[36:37]                                   // 0000000062E0: BEFE0124
	v_mov_b32_e32 v6, v48                                      // 0000000062E4: 7E0C0330
	s_mov_b64 s[60:61], 0                                      // 0000000062E8: BEBC0180
	v_readlane_b32 s82, v3, 4                                  // 0000000062EC: D2890052 00010903
	s_and_b32 s82, s82, 0xffffff                               // 0000000062F4: 8652FF52 00FFFFFF
	s_cmp_lt_u32 s82, s66                                      // 0000000062FC: BF0A4252
	s_cselect_b32 s20, s36, s60                                // 000000006300: 85143C24
	v_readlane_b32 s82, v3, 5                                  // 000000006304: D2890052 00010B03
	s_and_b32 s82, s82, 0xffffff                               // 00000000630C: 8652FF52 00FFFFFF
	s_cmp_lt_u32 s82, s66                                      // 000000006314: BF0A4252
	s_cselect_b32 s21, s36, s60                                // 000000006318: 85153C24
	s_mov_b64 exec, s[20:21]                                   // 00000000631C: BEFE0114
	global_atomic_add_f32 v6, v64, s[8:9]                      // 000000006320: DD348000 00084006
	global_atomic_add_f32 v6, v68, s[8:9] offset:256           // 000000006328: DD348100 00084406
	s_mov_b64 exec, s[36:37]                                   // 000000006330: BEFE0124
	v_mov_b32_e32 v6, v49                                      // 000000006334: 7E0C0331
	s_mov_b64 s[60:61], 0                                      // 000000006338: BEBC0180
	v_readlane_b32 s82, v3, 6                                  // 00000000633C: D2890052 00010D03
	s_and_b32 s82, s82, 0xffffff                               // 000000006344: 8652FF52 00FFFFFF
	s_cmp_lt_u32 s82, s66                                      // 00000000634C: BF0A4252
	s_cselect_b32 s20, s36, s60                                // 000000006350: 85143C24
	v_readlane_b32 s82, v3, 7                                  // 000000006354: D2890052 00010F03
	s_and_b32 s82, s82, 0xffffff                               // 00000000635C: 8652FF52 00FFFFFF
	s_cmp_lt_u32 s82, s66                                      // 000000006364: BF0A4252
	s_cselect_b32 s21, s36, s60                                // 000000006368: 85153C24
	s_mov_b64 exec, s[20:21]                                   // 00000000636C: BEFE0114
	global_atomic_add_f32 v6, v65, s[8:9]                      // 000000006370: DD348000 00084106
	global_atomic_add_f32 v6, v69, s[8:9] offset:256           // 000000006378: DD348100 00084506
	s_mov_b64 exec, s[36:37]                                   // 000000006380: BEFE0124
	v_mov_b32_e32 v6, v50                                      // 000000006384: 7E0C0332
	s_mov_b64 s[60:61], 0                                      // 000000006388: BEBC0180
	v_readlane_b32 s82, v3, 8                                  // 00000000638C: D2890052 00011103
	s_and_b32 s82, s82, 0xffffff                               // 000000006394: 8652FF52 00FFFFFF
	s_cmp_lt_u32 s82, s66                                      // 00000000639C: BF0A4252
	s_cselect_b32 s20, s36, s60                                // 0000000063A0: 85143C24
	v_readlane_b32 s82, v3, 9                                  // 0000000063A4: D2890052 00011303
	s_and_b32 s82, s82, 0xffffff                               // 0000000063AC: 8652FF52 00FFFFFF
	s_cmp_lt_u32 s82, s66                                      // 0000000063B4: BF0A4252
	s_cselect_b32 s21, s36, s60                                // 0000000063B8: 85153C24
	s_mov_b64 exec, s[20:21]                                   // 0000000063BC: BEFE0114
	global_atomic_add_f32 v6, v72, s[8:9]                      // 0000000063C0: DD348000 00084806
	global_atomic_add_f32 v6, v76, s[8:9] offset:256           // 0000000063C8: DD348100 00084C06
	s_mov_b64 exec, s[36:37]                                   // 0000000063D0: BEFE0124
	v_mov_b32_e32 v6, v51                                      // 0000000063D4: 7E0C0333
	s_mov_b64 s[60:61], 0                                      // 0000000063D8: BEBC0180
	v_readlane_b32 s82, v3, 10                                 // 0000000063DC: D2890052 00011503
	s_and_b32 s82, s82, 0xffffff                               // 0000000063E4: 8652FF52 00FFFFFF
	s_cmp_lt_u32 s82, s66                                      // 0000000063EC: BF0A4252
	s_cselect_b32 s20, s36, s60                                // 0000000063F0: 85143C24
	v_readlane_b32 s82, v3, 11                                 // 0000000063F4: D2890052 00011703
	s_and_b32 s82, s82, 0xffffff                               // 0000000063FC: 8652FF52 00FFFFFF
	s_cmp_lt_u32 s82, s66                                      // 000000006404: BF0A4252
	s_cselect_b32 s21, s36, s60                                // 000000006408: 85153C24
	s_mov_b64 exec, s[20:21]                                   // 00000000640C: BEFE0114
	global_atomic_add_f32 v6, v73, s[8:9]                      // 000000006410: DD348000 00084906
	global_atomic_add_f32 v6, v77, s[8:9] offset:256           // 000000006418: DD348100 00084D06
	s_mov_b64 exec, s[36:37]                                   // 000000006420: BEFE0124
	v_mov_b32_e32 v6, v52                                      // 000000006424: 7E0C0334
	s_mov_b64 s[60:61], 0                                      // 000000006428: BEBC0180
	v_readlane_b32 s82, v3, 12                                 // 00000000642C: D2890052 00011903
	s_and_b32 s82, s82, 0xffffff                               // 000000006434: 8652FF52 00FFFFFF
	s_cmp_lt_u32 s82, s66                                      // 00000000643C: BF0A4252
	s_cselect_b32 s20, s36, s60                                // 000000006440: 85143C24
	v_readlane_b32 s82, v3, 13                                 // 000000006444: D2890052 00011B03
	s_and_b32 s82, s82, 0xffffff                               // 00000000644C: 8652FF52 00FFFFFF
	s_cmp_lt_u32 s82, s66                                      // 000000006454: BF0A4252
	s_cselect_b32 s21, s36, s60                                // 000000006458: 85153C24
	s_mov_b64 exec, s[20:21]                                   // 00000000645C: BEFE0114
	global_atomic_add_f32 v6, v80, s[8:9]                      // 000000006460: DD348000 00085006
	global_atomic_add_f32 v6, v84, s[8:9] offset:256           // 000000006468: DD348100 00085406
	s_mov_b64 exec, s[36:37]                                   // 000000006470: BEFE0124
	v_mov_b32_e32 v6, v53                                      // 000000006474: 7E0C0335
	s_mov_b64 s[60:61], 0                                      // 000000006478: BEBC0180
	v_readlane_b32 s82, v3, 14                                 // 00000000647C: D2890052 00011D03
	s_and_b32 s82, s82, 0xffffff                               // 000000006484: 8652FF52 00FFFFFF
	s_cmp_lt_u32 s82, s66                                      // 00000000648C: BF0A4252
	s_cselect_b32 s20, s36, s60                                // 000000006490: 85143C24
	v_readlane_b32 s82, v3, 15                                 // 000000006494: D2890052 00011F03
	s_and_b32 s82, s82, 0xffffff                               // 00000000649C: 8652FF52 00FFFFFF
	s_cmp_lt_u32 s82, s66                                      // 0000000064A4: BF0A4252
	s_cselect_b32 s21, s36, s60                                // 0000000064A8: 85153C24
	s_mov_b64 exec, s[20:21]                                   // 0000000064AC: BEFE0114
	global_atomic_add_f32 v6, v81, s[8:9]                      // 0000000064B0: DD348000 00085106
	global_atomic_add_f32 v6, v85, s[8:9] offset:256           // 0000000064B8: DD348100 00085506
	s_mov_b64 exec, s[36:37]                                   // 0000000064C0: BEFE0124
	ds_write_b64 v20, v[58:59]                                 // 0000000064C4: D89A0000 00003A14
	ds_write_b64 v20, v[62:63] offset:4352                     // 0000000064CC: D89A1100 00003E14
	ds_write_b64 v20, v[66:67] offset:8704                     // 0000000064D4: D89A2200 00004214
	ds_write_b64 v20, v[70:71] offset:13056                    // 0000000064DC: D89A3300 00004614
	ds_write_b64 v20, v[74:75] offset:2176                     // 0000000064E4: D89A0880 00004A14
	ds_write_b64 v20, v[78:79] offset:6528                     // 0000000064EC: D89A1980 00004E14
	ds_write_b64 v20, v[82:83] offset:10880                    // 0000000064F4: D89A2A80 00005214
	ds_write_b64 v20, v[86:87] offset:15232                    // 0000000064FC: D89A3B80 00005614
	s_waitcnt lgkmcnt(0)                                       // 000000006504: BF8CC07F
	s_barrier                                                  // 000000006508: BF8A0000
	ds_read_b32 v58, v21                                       // 00000000650C: D86C0000 3A000015
	ds_read_b32 v59, v21 offset:64                             // 000000006514: D86C0040 3B000015
	ds_read_b32 v62, v21 offset:2176                           // 00000000651C: D86C0880 3E000015
	ds_read_b32 v63, v21 offset:2240                           // 000000006524: D86C08C0 3F000015
	ds_read_b32 v66, v21 offset:4352                           // 00000000652C: D86C1100 42000015
	ds_read_b32 v67, v21 offset:4416                           // 000000006534: D86C1140 43000015
	ds_read_b32 v70, v21 offset:6528                           // 00000000653C: D86C1980 46000015
	ds_read_b32 v71, v21 offset:6592                           // 000000006544: D86C19C0 47000015
	ds_read_b32 v74, v21 offset:8704                           // 00000000654C: D86C2200 4A000015
	ds_read_b32 v75, v21 offset:8768                           // 000000006554: D86C2240 4B000015
	ds_read_b32 v78, v21 offset:10880                          // 00000000655C: D86C2A80 4E000015
	ds_read_b32 v79, v21 offset:10944                          // 000000006564: D86C2AC0 4F000015
	ds_read_b32 v82, v21 offset:13056                          // 00000000656C: D86C3300 52000015
	ds_read_b32 v83, v21 offset:13120                          // 000000006574: D86C3340 53000015
	ds_read_b32 v86, v21 offset:15232                          // 00000000657C: D86C3B80 56000015
	ds_read_b32 v87, v21 offset:15296                          // 000000006584: D86C3BC0 57000015
	s_waitcnt lgkmcnt(0)                                       // 00000000658C: BF8CC07F
	v_mov_b32_e32 v7, 0                                        // 000000006590: 7E0E0280
	s_mov_b64 exec, s[36:37]                                   // 000000006594: BEFE0124
	v_mov_b32_e32 v6, v46                                      // 000000006598: 7E0C032E
	s_mov_b64 s[60:61], 0                                      // 00000000659C: BEBC0180
	v_readlane_b32 s82, v3, 0                                  // 0000000065A0: D2890052 00010103
	s_and_b32 s82, s82, 0xffffff                               // 0000000065A8: 8652FF52 00FFFFFF
	s_cmp_lt_u32 s82, s66                                      // 0000000065B0: BF0A4252
	s_cselect_b32 s20, s36, s60                                // 0000000065B4: 85143C24
	v_readlane_b32 s82, v3, 1                                  // 0000000065B8: D2890052 00010303
	s_and_b32 s82, s82, 0xffffff                               // 0000000065C0: 8652FF52 00FFFFFF
	s_cmp_lt_u32 s82, s66                                      // 0000000065C8: BF0A4252
	s_cselect_b32 s21, s36, s60                                // 0000000065CC: 85153C24
	s_mov_b64 exec, s[20:21]                                   // 0000000065D0: BEFE0114
	global_atomic_add_f32 v6, v58, s[8:9] offset:8             // 0000000065D4: DD348008 00083A06
	global_atomic_add_f32 v6, v62, s[8:9] offset:264           // 0000000065DC: DD348108 00083E06
	s_mov_b64 exec, s[36:37]                                   // 0000000065E4: BEFE0124
	v_mov_b32_e32 v6, v47                                      // 0000000065E8: 7E0C032F
	s_mov_b64 s[60:61], 0                                      // 0000000065EC: BEBC0180
	v_readlane_b32 s82, v3, 2                                  // 0000000065F0: D2890052 00010503
	s_and_b32 s82, s82, 0xffffff                               // 0000000065F8: 8652FF52 00FFFFFF
	s_cmp_lt_u32 s82, s66                                      // 000000006600: BF0A4252
	s_cselect_b32 s20, s36, s60                                // 000000006604: 85143C24
	v_readlane_b32 s82, v3, 3                                  // 000000006608: D2890052 00010703
	s_and_b32 s82, s82, 0xffffff                               // 000000006610: 8652FF52 00FFFFFF
	s_cmp_lt_u32 s82, s66                                      // 000000006618: BF0A4252
	s_cselect_b32 s21, s36, s60                                // 00000000661C: 85153C24
	s_mov_b64 exec, s[20:21]                                   // 000000006620: BEFE0114
	global_atomic_add_f32 v6, v59, s[8:9] offset:8             // 000000006624: DD348008 00083B06
	global_atomic_add_f32 v6, v63, s[8:9] offset:264           // 00000000662C: DD348108 00083F06
	s_mov_b64 exec, s[36:37]                                   // 000000006634: BEFE0124
	v_mov_b32_e32 v6, v48                                      // 000000006638: 7E0C0330
	s_mov_b64 s[60:61], 0                                      // 00000000663C: BEBC0180
	v_readlane_b32 s82, v3, 4                                  // 000000006640: D2890052 00010903
	s_and_b32 s82, s82, 0xffffff                               // 000000006648: 8652FF52 00FFFFFF
	s_cmp_lt_u32 s82, s66                                      // 000000006650: BF0A4252
	s_cselect_b32 s20, s36, s60                                // 000000006654: 85143C24
	v_readlane_b32 s82, v3, 5                                  // 000000006658: D2890052 00010B03
	s_and_b32 s82, s82, 0xffffff                               // 000000006660: 8652FF52 00FFFFFF
	s_cmp_lt_u32 s82, s66                                      // 000000006668: BF0A4252
	s_cselect_b32 s21, s36, s60                                // 00000000666C: 85153C24
	s_mov_b64 exec, s[20:21]                                   // 000000006670: BEFE0114
	global_atomic_add_f32 v6, v66, s[8:9] offset:8             // 000000006674: DD348008 00084206
	global_atomic_add_f32 v6, v70, s[8:9] offset:264           // 00000000667C: DD348108 00084606
	s_mov_b64 exec, s[36:37]                                   // 000000006684: BEFE0124
	v_mov_b32_e32 v6, v49                                      // 000000006688: 7E0C0331
	s_mov_b64 s[60:61], 0                                      // 00000000668C: BEBC0180
	v_readlane_b32 s82, v3, 6                                  // 000000006690: D2890052 00010D03
	s_and_b32 s82, s82, 0xffffff                               // 000000006698: 8652FF52 00FFFFFF
	s_cmp_lt_u32 s82, s66                                      // 0000000066A0: BF0A4252
	s_cselect_b32 s20, s36, s60                                // 0000000066A4: 85143C24
	v_readlane_b32 s82, v3, 7                                  // 0000000066A8: D2890052 00010F03
	s_and_b32 s82, s82, 0xffffff                               // 0000000066B0: 8652FF52 00FFFFFF
	s_cmp_lt_u32 s82, s66                                      // 0000000066B8: BF0A4252
	s_cselect_b32 s21, s36, s60                                // 0000000066BC: 85153C24
	s_mov_b64 exec, s[20:21]                                   // 0000000066C0: BEFE0114
	global_atomic_add_f32 v6, v67, s[8:9] offset:8             // 0000000066C4: DD348008 00084306
	global_atomic_add_f32 v6, v71, s[8:9] offset:264           // 0000000066CC: DD348108 00084706
	s_mov_b64 exec, s[36:37]                                   // 0000000066D4: BEFE0124
	v_mov_b32_e32 v6, v50                                      // 0000000066D8: 7E0C0332
	s_mov_b64 s[60:61], 0                                      // 0000000066DC: BEBC0180
	v_readlane_b32 s82, v3, 8                                  // 0000000066E0: D2890052 00011103
	s_and_b32 s82, s82, 0xffffff                               // 0000000066E8: 8652FF52 00FFFFFF
	s_cmp_lt_u32 s82, s66                                      // 0000000066F0: BF0A4252
	s_cselect_b32 s20, s36, s60                                // 0000000066F4: 85143C24
	v_readlane_b32 s82, v3, 9                                  // 0000000066F8: D2890052 00011303
	s_and_b32 s82, s82, 0xffffff                               // 000000006700: 8652FF52 00FFFFFF
	s_cmp_lt_u32 s82, s66                                      // 000000006708: BF0A4252
	s_cselect_b32 s21, s36, s60                                // 00000000670C: 85153C24
	s_mov_b64 exec, s[20:21]                                   // 000000006710: BEFE0114
	global_atomic_add_f32 v6, v74, s[8:9] offset:8             // 000000006714: DD348008 00084A06
	global_atomic_add_f32 v6, v78, s[8:9] offset:264           // 00000000671C: DD348108 00084E06
	s_mov_b64 exec, s[36:37]                                   // 000000006724: BEFE0124
	v_mov_b32_e32 v6, v51                                      // 000000006728: 7E0C0333
	s_mov_b64 s[60:61], 0                                      // 00000000672C: BEBC0180
	v_readlane_b32 s82, v3, 10                                 // 000000006730: D2890052 00011503
	s_and_b32 s82, s82, 0xffffff                               // 000000006738: 8652FF52 00FFFFFF
	s_cmp_lt_u32 s82, s66                                      // 000000006740: BF0A4252
	s_cselect_b32 s20, s36, s60                                // 000000006744: 85143C24
	v_readlane_b32 s82, v3, 11                                 // 000000006748: D2890052 00011703
	s_and_b32 s82, s82, 0xffffff                               // 000000006750: 8652FF52 00FFFFFF
	s_cmp_lt_u32 s82, s66                                      // 000000006758: BF0A4252
	s_cselect_b32 s21, s36, s60                                // 00000000675C: 85153C24
	s_mov_b64 exec, s[20:21]                                   // 000000006760: BEFE0114
	global_atomic_add_f32 v6, v75, s[8:9] offset:8             // 000000006764: DD348008 00084B06
	global_atomic_add_f32 v6, v79, s[8:9] offset:264           // 00000000676C: DD348108 00084F06
	s_mov_b64 exec, s[36:37]                                   // 000000006774: BEFE0124
	v_mov_b32_e32 v6, v52                                      // 000000006778: 7E0C0334
	s_mov_b64 s[60:61], 0                                      // 00000000677C: BEBC0180
	v_readlane_b32 s82, v3, 12                                 // 000000006780: D2890052 00011903
	s_and_b32 s82, s82, 0xffffff                               // 000000006788: 8652FF52 00FFFFFF
	s_cmp_lt_u32 s82, s66                                      // 000000006790: BF0A4252
	s_cselect_b32 s20, s36, s60                                // 000000006794: 85143C24
	v_readlane_b32 s82, v3, 13                                 // 000000006798: D2890052 00011B03
	s_and_b32 s82, s82, 0xffffff                               // 0000000067A0: 8652FF52 00FFFFFF
	s_cmp_lt_u32 s82, s66                                      // 0000000067A8: BF0A4252
	s_cselect_b32 s21, s36, s60                                // 0000000067AC: 85153C24
	s_mov_b64 exec, s[20:21]                                   // 0000000067B0: BEFE0114
	global_atomic_add_f32 v6, v82, s[8:9] offset:8             // 0000000067B4: DD348008 00085206
	global_atomic_add_f32 v6, v86, s[8:9] offset:264           // 0000000067BC: DD348108 00085606
	s_mov_b64 exec, s[36:37]                                   // 0000000067C4: BEFE0124
	v_mov_b32_e32 v6, v53                                      // 0000000067C8: 7E0C0335
	s_mov_b64 s[60:61], 0                                      // 0000000067CC: BEBC0180
	v_readlane_b32 s82, v3, 14                                 // 0000000067D0: D2890052 00011D03
	s_and_b32 s82, s82, 0xffffff                               // 0000000067D8: 8652FF52 00FFFFFF
	s_cmp_lt_u32 s82, s66                                      // 0000000067E0: BF0A4252
	s_cselect_b32 s20, s36, s60                                // 0000000067E4: 85143C24
	v_readlane_b32 s82, v3, 15                                 // 0000000067E8: D2890052 00011F03
	s_and_b32 s82, s82, 0xffffff                               // 0000000067F0: 8652FF52 00FFFFFF
	s_cmp_lt_u32 s82, s66                                      // 0000000067F8: BF0A4252
	s_cselect_b32 s21, s36, s60                                // 0000000067FC: 85153C24
	s_mov_b64 exec, s[20:21]                                   // 000000006800: BEFE0114
	global_atomic_add_f32 v6, v83, s[8:9] offset:8             // 000000006804: DD348008 00085306
	global_atomic_add_f32 v6, v87, s[8:9] offset:264           // 00000000680C: DD348108 00085706
	s_mov_b64 exec, s[36:37]                                   // 000000006814: BEFE0124
	ds_write_b64 v20, v[88:89]                                 // 000000006818: D89A0000 00005814
	ds_write_b64 v20, v[92:93] offset:4352                     // 000000006820: D89A1100 00005C14
	ds_write_b64 v20, v[96:97] offset:8704                     // 000000006828: D89A2200 00006014
	ds_write_b64 v20, v[100:101] offset:13056                  // 000000006830: D89A3300 00006414
	ds_write_b64 v20, v[104:105] offset:2176                   // 000000006838: D89A0880 00006814
	ds_write_b64 v20, v[108:109] offset:6528                   // 000000006840: D89A1980 00006C14
	ds_write_b64 v20, v[112:113] offset:10880                  // 000000006848: D89A2A80 00007014
	ds_write_b64 v20, v[116:117] offset:15232                  // 000000006850: D89A3B80 00007414
	s_waitcnt lgkmcnt(0)                                       // 000000006858: BF8CC07F
	s_barrier                                                  // 00000000685C: BF8A0000
	ds_read_b32 v88, v21                                       // 000000006860: D86C0000 58000015
	ds_read_b32 v89, v21 offset:64                             // 000000006868: D86C0040 59000015
	ds_read_b32 v92, v21 offset:2176                           // 000000006870: D86C0880 5C000015
	ds_read_b32 v93, v21 offset:2240                           // 000000006878: D86C08C0 5D000015
	ds_read_b32 v96, v21 offset:4352                           // 000000006880: D86C1100 60000015
	ds_read_b32 v97, v21 offset:4416                           // 000000006888: D86C1140 61000015
	ds_read_b32 v100, v21 offset:6528                          // 000000006890: D86C1980 64000015
	ds_read_b32 v101, v21 offset:6592                          // 000000006898: D86C19C0 65000015
	ds_read_b32 v104, v21 offset:8704                          // 0000000068A0: D86C2200 68000015
	ds_read_b32 v105, v21 offset:8768                          // 0000000068A8: D86C2240 69000015
	ds_read_b32 v108, v21 offset:10880                         // 0000000068B0: D86C2A80 6C000015
	ds_read_b32 v109, v21 offset:10944                         // 0000000068B8: D86C2AC0 6D000015
	ds_read_b32 v112, v21 offset:13056                         // 0000000068C0: D86C3300 70000015
	ds_read_b32 v113, v21 offset:13120                         // 0000000068C8: D86C3340 71000015
	ds_read_b32 v116, v21 offset:15232                         // 0000000068D0: D86C3B80 74000015
	ds_read_b32 v117, v21 offset:15296                         // 0000000068D8: D86C3BC0 75000015
	s_mul_i32 s60, s65, 4                                      // 0000000068E0: 923C8441
	s_add_u32 s8, s60, s8                                      // 0000000068E4: 8008083C
	s_addc_u32 s9, 0, s9                                       // 0000000068E8: 82090980
	s_waitcnt lgkmcnt(0)                                       // 0000000068EC: BF8CC07F
	v_mov_b32_e32 v7, 0                                        // 0000000068F0: 7E0E0280
	s_mov_b64 exec, s[36:37]                                   // 0000000068F4: BEFE0124
	v_mov_b32_e32 v6, v46                                      // 0000000068F8: 7E0C032E
	s_mov_b64 s[60:61], 0                                      // 0000000068FC: BEBC0180
	v_readlane_b32 s82, v3, 0                                  // 000000006900: D2890052 00010103
	s_and_b32 s82, s82, 0xffffff                               // 000000006908: 8652FF52 00FFFFFF
	s_cmp_lt_u32 s82, s66                                      // 000000006910: BF0A4252
	s_cselect_b32 s20, s36, s60                                // 000000006914: 85143C24
	v_readlane_b32 s82, v3, 1                                  // 000000006918: D2890052 00010303
	s_and_b32 s82, s82, 0xffffff                               // 000000006920: 8652FF52 00FFFFFF
	s_cmp_lt_u32 s82, s66                                      // 000000006928: BF0A4252
	s_cselect_b32 s21, s36, s60                                // 00000000692C: 85153C24
	s_mov_b64 exec, s[20:21]                                   // 000000006930: BEFE0114
	global_atomic_add_f32 v6, v88, s[8:9]                      // 000000006934: DD348000 00085806
	global_atomic_add_f32 v6, v92, s[8:9] offset:256           // 00000000693C: DD348100 00085C06
	s_mov_b64 exec, s[36:37]                                   // 000000006944: BEFE0124
	v_mov_b32_e32 v6, v47                                      // 000000006948: 7E0C032F
	s_mov_b64 s[60:61], 0                                      // 00000000694C: BEBC0180
	v_readlane_b32 s82, v3, 2                                  // 000000006950: D2890052 00010503
	s_and_b32 s82, s82, 0xffffff                               // 000000006958: 8652FF52 00FFFFFF
	s_cmp_lt_u32 s82, s66                                      // 000000006960: BF0A4252
	s_cselect_b32 s20, s36, s60                                // 000000006964: 85143C24
	v_readlane_b32 s82, v3, 3                                  // 000000006968: D2890052 00010703
	s_and_b32 s82, s82, 0xffffff                               // 000000006970: 8652FF52 00FFFFFF
	s_cmp_lt_u32 s82, s66                                      // 000000006978: BF0A4252
	s_cselect_b32 s21, s36, s60                                // 00000000697C: 85153C24
	s_mov_b64 exec, s[20:21]                                   // 000000006980: BEFE0114
	global_atomic_add_f32 v6, v89, s[8:9]                      // 000000006984: DD348000 00085906
	global_atomic_add_f32 v6, v93, s[8:9] offset:256           // 00000000698C: DD348100 00085D06
	s_mov_b64 exec, s[36:37]                                   // 000000006994: BEFE0124
	v_mov_b32_e32 v6, v48                                      // 000000006998: 7E0C0330
	s_mov_b64 s[60:61], 0                                      // 00000000699C: BEBC0180
	v_readlane_b32 s82, v3, 4                                  // 0000000069A0: D2890052 00010903
	s_and_b32 s82, s82, 0xffffff                               // 0000000069A8: 8652FF52 00FFFFFF
	s_cmp_lt_u32 s82, s66                                      // 0000000069B0: BF0A4252
	s_cselect_b32 s20, s36, s60                                // 0000000069B4: 85143C24
	v_readlane_b32 s82, v3, 5                                  // 0000000069B8: D2890052 00010B03
	s_and_b32 s82, s82, 0xffffff                               // 0000000069C0: 8652FF52 00FFFFFF
	s_cmp_lt_u32 s82, s66                                      // 0000000069C8: BF0A4252
	s_cselect_b32 s21, s36, s60                                // 0000000069CC: 85153C24
	s_mov_b64 exec, s[20:21]                                   // 0000000069D0: BEFE0114
	global_atomic_add_f32 v6, v96, s[8:9]                      // 0000000069D4: DD348000 00086006
	global_atomic_add_f32 v6, v100, s[8:9] offset:256          // 0000000069DC: DD348100 00086406
	s_mov_b64 exec, s[36:37]                                   // 0000000069E4: BEFE0124
	v_mov_b32_e32 v6, v49                                      // 0000000069E8: 7E0C0331
	s_mov_b64 s[60:61], 0                                      // 0000000069EC: BEBC0180
	v_readlane_b32 s82, v3, 6                                  // 0000000069F0: D2890052 00010D03
	s_and_b32 s82, s82, 0xffffff                               // 0000000069F8: 8652FF52 00FFFFFF
	s_cmp_lt_u32 s82, s66                                      // 000000006A00: BF0A4252
	s_cselect_b32 s20, s36, s60                                // 000000006A04: 85143C24
	v_readlane_b32 s82, v3, 7                                  // 000000006A08: D2890052 00010F03
	s_and_b32 s82, s82, 0xffffff                               // 000000006A10: 8652FF52 00FFFFFF
	s_cmp_lt_u32 s82, s66                                      // 000000006A18: BF0A4252
	s_cselect_b32 s21, s36, s60                                // 000000006A1C: 85153C24
	s_mov_b64 exec, s[20:21]                                   // 000000006A20: BEFE0114
	global_atomic_add_f32 v6, v97, s[8:9]                      // 000000006A24: DD348000 00086106
	global_atomic_add_f32 v6, v101, s[8:9] offset:256          // 000000006A2C: DD348100 00086506
	s_mov_b64 exec, s[36:37]                                   // 000000006A34: BEFE0124
	v_mov_b32_e32 v6, v50                                      // 000000006A38: 7E0C0332
	s_mov_b64 s[60:61], 0                                      // 000000006A3C: BEBC0180
	v_readlane_b32 s82, v3, 8                                  // 000000006A40: D2890052 00011103
	s_and_b32 s82, s82, 0xffffff                               // 000000006A48: 8652FF52 00FFFFFF
	s_cmp_lt_u32 s82, s66                                      // 000000006A50: BF0A4252
	s_cselect_b32 s20, s36, s60                                // 000000006A54: 85143C24
	v_readlane_b32 s82, v3, 9                                  // 000000006A58: D2890052 00011303
	s_and_b32 s82, s82, 0xffffff                               // 000000006A60: 8652FF52 00FFFFFF
	s_cmp_lt_u32 s82, s66                                      // 000000006A68: BF0A4252
	s_cselect_b32 s21, s36, s60                                // 000000006A6C: 85153C24
	s_mov_b64 exec, s[20:21]                                   // 000000006A70: BEFE0114
	global_atomic_add_f32 v6, v104, s[8:9]                     // 000000006A74: DD348000 00086806
	global_atomic_add_f32 v6, v108, s[8:9] offset:256          // 000000006A7C: DD348100 00086C06
	s_mov_b64 exec, s[36:37]                                   // 000000006A84: BEFE0124
	v_mov_b32_e32 v6, v51                                      // 000000006A88: 7E0C0333
	s_mov_b64 s[60:61], 0                                      // 000000006A8C: BEBC0180
	v_readlane_b32 s82, v3, 10                                 // 000000006A90: D2890052 00011503
	s_and_b32 s82, s82, 0xffffff                               // 000000006A98: 8652FF52 00FFFFFF
	s_cmp_lt_u32 s82, s66                                      // 000000006AA0: BF0A4252
	s_cselect_b32 s20, s36, s60                                // 000000006AA4: 85143C24
	v_readlane_b32 s82, v3, 11                                 // 000000006AA8: D2890052 00011703
	s_and_b32 s82, s82, 0xffffff                               // 000000006AB0: 8652FF52 00FFFFFF
	s_cmp_lt_u32 s82, s66                                      // 000000006AB8: BF0A4252
	s_cselect_b32 s21, s36, s60                                // 000000006ABC: 85153C24
	s_mov_b64 exec, s[20:21]                                   // 000000006AC0: BEFE0114
	global_atomic_add_f32 v6, v105, s[8:9]                     // 000000006AC4: DD348000 00086906
	global_atomic_add_f32 v6, v109, s[8:9] offset:256          // 000000006ACC: DD348100 00086D06
	s_mov_b64 exec, s[36:37]                                   // 000000006AD4: BEFE0124
	v_mov_b32_e32 v6, v52                                      // 000000006AD8: 7E0C0334
	s_mov_b64 s[60:61], 0                                      // 000000006ADC: BEBC0180
	v_readlane_b32 s82, v3, 12                                 // 000000006AE0: D2890052 00011903
	s_and_b32 s82, s82, 0xffffff                               // 000000006AE8: 8652FF52 00FFFFFF
	s_cmp_lt_u32 s82, s66                                      // 000000006AF0: BF0A4252
	s_cselect_b32 s20, s36, s60                                // 000000006AF4: 85143C24
	v_readlane_b32 s82, v3, 13                                 // 000000006AF8: D2890052 00011B03
	s_and_b32 s82, s82, 0xffffff                               // 000000006B00: 8652FF52 00FFFFFF
	s_cmp_lt_u32 s82, s66                                      // 000000006B08: BF0A4252
	s_cselect_b32 s21, s36, s60                                // 000000006B0C: 85153C24
	s_mov_b64 exec, s[20:21]                                   // 000000006B10: BEFE0114
	global_atomic_add_f32 v6, v112, s[8:9]                     // 000000006B14: DD348000 00087006
	global_atomic_add_f32 v6, v116, s[8:9] offset:256          // 000000006B1C: DD348100 00087406
	s_mov_b64 exec, s[36:37]                                   // 000000006B24: BEFE0124
	v_mov_b32_e32 v6, v53                                      // 000000006B28: 7E0C0335
	s_mov_b64 s[60:61], 0                                      // 000000006B2C: BEBC0180
	v_readlane_b32 s82, v3, 14                                 // 000000006B30: D2890052 00011D03
	s_and_b32 s82, s82, 0xffffff                               // 000000006B38: 8652FF52 00FFFFFF
	s_cmp_lt_u32 s82, s66                                      // 000000006B40: BF0A4252
	s_cselect_b32 s20, s36, s60                                // 000000006B44: 85143C24
	v_readlane_b32 s82, v3, 15                                 // 000000006B48: D2890052 00011F03
	s_and_b32 s82, s82, 0xffffff                               // 000000006B50: 8652FF52 00FFFFFF
	s_cmp_lt_u32 s82, s66                                      // 000000006B58: BF0A4252
	s_cselect_b32 s21, s36, s60                                // 000000006B5C: 85153C24
	s_mov_b64 exec, s[20:21]                                   // 000000006B60: BEFE0114
	global_atomic_add_f32 v6, v113, s[8:9]                     // 000000006B64: DD348000 00087106
	global_atomic_add_f32 v6, v117, s[8:9] offset:256          // 000000006B6C: DD348100 00087506
	s_mov_b64 exec, s[36:37]                                   // 000000006B74: BEFE0124
	ds_write_b64 v20, v[90:91]                                 // 000000006B78: D89A0000 00005A14
	ds_write_b64 v20, v[94:95] offset:4352                     // 000000006B80: D89A1100 00005E14
	ds_write_b64 v20, v[98:99] offset:8704                     // 000000006B88: D89A2200 00006214
	ds_write_b64 v20, v[102:103] offset:13056                  // 000000006B90: D89A3300 00006614
	ds_write_b64 v20, v[106:107] offset:2176                   // 000000006B98: D89A0880 00006A14
	ds_write_b64 v20, v[110:111] offset:6528                   // 000000006BA0: D89A1980 00006E14
	ds_write_b64 v20, v[114:115] offset:10880                  // 000000006BA8: D89A2A80 00007214
	ds_write_b64 v20, v[118:119] offset:15232                  // 000000006BB0: D89A3B80 00007614
	s_waitcnt lgkmcnt(0)                                       // 000000006BB8: BF8CC07F
	s_barrier                                                  // 000000006BBC: BF8A0000
	ds_read_b32 v90, v21                                       // 000000006BC0: D86C0000 5A000015
	ds_read_b32 v91, v21 offset:64                             // 000000006BC8: D86C0040 5B000015
	ds_read_b32 v94, v21 offset:2176                           // 000000006BD0: D86C0880 5E000015
	ds_read_b32 v95, v21 offset:2240                           // 000000006BD8: D86C08C0 5F000015
	ds_read_b32 v98, v21 offset:4352                           // 000000006BE0: D86C1100 62000015
	ds_read_b32 v99, v21 offset:4416                           // 000000006BE8: D86C1140 63000015
	ds_read_b32 v102, v21 offset:6528                          // 000000006BF0: D86C1980 66000015
	ds_read_b32 v103, v21 offset:6592                          // 000000006BF8: D86C19C0 67000015
	ds_read_b32 v106, v21 offset:8704                          // 000000006C00: D86C2200 6A000015
	ds_read_b32 v107, v21 offset:8768                          // 000000006C08: D86C2240 6B000015
	ds_read_b32 v110, v21 offset:10880                         // 000000006C10: D86C2A80 6E000015
	ds_read_b32 v111, v21 offset:10944                         // 000000006C18: D86C2AC0 6F000015
	ds_read_b32 v114, v21 offset:13056                         // 000000006C20: D86C3300 72000015
	ds_read_b32 v115, v21 offset:13120                         // 000000006C28: D86C3340 73000015
	ds_read_b32 v118, v21 offset:15232                         // 000000006C30: D86C3B80 76000015
	ds_read_b32 v119, v21 offset:15296                         // 000000006C38: D86C3BC0 77000015
	s_waitcnt lgkmcnt(0)                                       // 000000006C40: BF8CC07F
	v_mov_b32_e32 v7, 0                                        // 000000006C44: 7E0E0280
	s_mov_b64 exec, s[36:37]                                   // 000000006C48: BEFE0124
	v_mov_b32_e32 v6, v46                                      // 000000006C4C: 7E0C032E
	s_mov_b64 s[60:61], 0                                      // 000000006C50: BEBC0180
	v_readlane_b32 s82, v3, 0                                  // 000000006C54: D2890052 00010103
	s_and_b32 s82, s82, 0xffffff                               // 000000006C5C: 8652FF52 00FFFFFF
	s_cmp_lt_u32 s82, s66                                      // 000000006C64: BF0A4252
	s_cselect_b32 s20, s36, s60                                // 000000006C68: 85143C24
	v_readlane_b32 s82, v3, 1                                  // 000000006C6C: D2890052 00010303
	s_and_b32 s82, s82, 0xffffff                               // 000000006C74: 8652FF52 00FFFFFF
	s_cmp_lt_u32 s82, s66                                      // 000000006C7C: BF0A4252
	s_cselect_b32 s21, s36, s60                                // 000000006C80: 85153C24
	s_mov_b64 exec, s[20:21]                                   // 000000006C84: BEFE0114
	global_atomic_add_f32 v6, v90, s[8:9] offset:8             // 000000006C88: DD348008 00085A06
	global_atomic_add_f32 v6, v94, s[8:9] offset:264           // 000000006C90: DD348108 00085E06
	s_mov_b64 exec, s[36:37]                                   // 000000006C98: BEFE0124
	v_mov_b32_e32 v6, v47                                      // 000000006C9C: 7E0C032F
	s_mov_b64 s[60:61], 0                                      // 000000006CA0: BEBC0180
	v_readlane_b32 s82, v3, 2                                  // 000000006CA4: D2890052 00010503
	s_and_b32 s82, s82, 0xffffff                               // 000000006CAC: 8652FF52 00FFFFFF
	s_cmp_lt_u32 s82, s66                                      // 000000006CB4: BF0A4252
	s_cselect_b32 s20, s36, s60                                // 000000006CB8: 85143C24
	v_readlane_b32 s82, v3, 3                                  // 000000006CBC: D2890052 00010703
	s_and_b32 s82, s82, 0xffffff                               // 000000006CC4: 8652FF52 00FFFFFF
	s_cmp_lt_u32 s82, s66                                      // 000000006CCC: BF0A4252
	s_cselect_b32 s21, s36, s60                                // 000000006CD0: 85153C24
	s_mov_b64 exec, s[20:21]                                   // 000000006CD4: BEFE0114
	global_atomic_add_f32 v6, v91, s[8:9] offset:8             // 000000006CD8: DD348008 00085B06
	global_atomic_add_f32 v6, v95, s[8:9] offset:264           // 000000006CE0: DD348108 00085F06
	s_mov_b64 exec, s[36:37]                                   // 000000006CE8: BEFE0124
	v_mov_b32_e32 v6, v48                                      // 000000006CEC: 7E0C0330
	s_mov_b64 s[60:61], 0                                      // 000000006CF0: BEBC0180
	v_readlane_b32 s82, v3, 4                                  // 000000006CF4: D2890052 00010903
	s_and_b32 s82, s82, 0xffffff                               // 000000006CFC: 8652FF52 00FFFFFF
	s_cmp_lt_u32 s82, s66                                      // 000000006D04: BF0A4252
	s_cselect_b32 s20, s36, s60                                // 000000006D08: 85143C24
	v_readlane_b32 s82, v3, 5                                  // 000000006D0C: D2890052 00010B03
	s_and_b32 s82, s82, 0xffffff                               // 000000006D14: 8652FF52 00FFFFFF
	s_cmp_lt_u32 s82, s66                                      // 000000006D1C: BF0A4252
	s_cselect_b32 s21, s36, s60                                // 000000006D20: 85153C24
	s_mov_b64 exec, s[20:21]                                   // 000000006D24: BEFE0114
	global_atomic_add_f32 v6, v98, s[8:9] offset:8             // 000000006D28: DD348008 00086206
	global_atomic_add_f32 v6, v102, s[8:9] offset:264          // 000000006D30: DD348108 00086606
	s_mov_b64 exec, s[36:37]                                   // 000000006D38: BEFE0124
	v_mov_b32_e32 v6, v49                                      // 000000006D3C: 7E0C0331
	s_mov_b64 s[60:61], 0                                      // 000000006D40: BEBC0180
	v_readlane_b32 s82, v3, 6                                  // 000000006D44: D2890052 00010D03
	s_and_b32 s82, s82, 0xffffff                               // 000000006D4C: 8652FF52 00FFFFFF
	s_cmp_lt_u32 s82, s66                                      // 000000006D54: BF0A4252
	s_cselect_b32 s20, s36, s60                                // 000000006D58: 85143C24
	v_readlane_b32 s82, v3, 7                                  // 000000006D5C: D2890052 00010F03
	s_and_b32 s82, s82, 0xffffff                               // 000000006D64: 8652FF52 00FFFFFF
	s_cmp_lt_u32 s82, s66                                      // 000000006D6C: BF0A4252
	s_cselect_b32 s21, s36, s60                                // 000000006D70: 85153C24
	s_mov_b64 exec, s[20:21]                                   // 000000006D74: BEFE0114
	global_atomic_add_f32 v6, v99, s[8:9] offset:8             // 000000006D78: DD348008 00086306
	global_atomic_add_f32 v6, v103, s[8:9] offset:264          // 000000006D80: DD348108 00086706
	s_mov_b64 exec, s[36:37]                                   // 000000006D88: BEFE0124
	v_mov_b32_e32 v6, v50                                      // 000000006D8C: 7E0C0332
	s_mov_b64 s[60:61], 0                                      // 000000006D90: BEBC0180
	v_readlane_b32 s82, v3, 8                                  // 000000006D94: D2890052 00011103
	s_and_b32 s82, s82, 0xffffff                               // 000000006D9C: 8652FF52 00FFFFFF
	s_cmp_lt_u32 s82, s66                                      // 000000006DA4: BF0A4252
	s_cselect_b32 s20, s36, s60                                // 000000006DA8: 85143C24
	v_readlane_b32 s82, v3, 9                                  // 000000006DAC: D2890052 00011303
	s_and_b32 s82, s82, 0xffffff                               // 000000006DB4: 8652FF52 00FFFFFF
	s_cmp_lt_u32 s82, s66                                      // 000000006DBC: BF0A4252
	s_cselect_b32 s21, s36, s60                                // 000000006DC0: 85153C24
	s_mov_b64 exec, s[20:21]                                   // 000000006DC4: BEFE0114
	global_atomic_add_f32 v6, v106, s[8:9] offset:8            // 000000006DC8: DD348008 00086A06
	global_atomic_add_f32 v6, v110, s[8:9] offset:264          // 000000006DD0: DD348108 00086E06
	s_mov_b64 exec, s[36:37]                                   // 000000006DD8: BEFE0124
	v_mov_b32_e32 v6, v51                                      // 000000006DDC: 7E0C0333
	s_mov_b64 s[60:61], 0                                      // 000000006DE0: BEBC0180
	v_readlane_b32 s82, v3, 10                                 // 000000006DE4: D2890052 00011503
	s_and_b32 s82, s82, 0xffffff                               // 000000006DEC: 8652FF52 00FFFFFF
	s_cmp_lt_u32 s82, s66                                      // 000000006DF4: BF0A4252
	s_cselect_b32 s20, s36, s60                                // 000000006DF8: 85143C24
	v_readlane_b32 s82, v3, 11                                 // 000000006DFC: D2890052 00011703
	s_and_b32 s82, s82, 0xffffff                               // 000000006E04: 8652FF52 00FFFFFF
	s_cmp_lt_u32 s82, s66                                      // 000000006E0C: BF0A4252
	s_cselect_b32 s21, s36, s60                                // 000000006E10: 85153C24
	s_mov_b64 exec, s[20:21]                                   // 000000006E14: BEFE0114
	global_atomic_add_f32 v6, v107, s[8:9] offset:8            // 000000006E18: DD348008 00086B06
	global_atomic_add_f32 v6, v111, s[8:9] offset:264          // 000000006E20: DD348108 00086F06
	s_mov_b64 exec, s[36:37]                                   // 000000006E28: BEFE0124
	v_mov_b32_e32 v6, v52                                      // 000000006E2C: 7E0C0334
	s_mov_b64 s[60:61], 0                                      // 000000006E30: BEBC0180
	v_readlane_b32 s82, v3, 12                                 // 000000006E34: D2890052 00011903
	s_and_b32 s82, s82, 0xffffff                               // 000000006E3C: 8652FF52 00FFFFFF
	s_cmp_lt_u32 s82, s66                                      // 000000006E44: BF0A4252
	s_cselect_b32 s20, s36, s60                                // 000000006E48: 85143C24
	v_readlane_b32 s82, v3, 13                                 // 000000006E4C: D2890052 00011B03
	s_and_b32 s82, s82, 0xffffff                               // 000000006E54: 8652FF52 00FFFFFF
	s_cmp_lt_u32 s82, s66                                      // 000000006E5C: BF0A4252
	s_cselect_b32 s21, s36, s60                                // 000000006E60: 85153C24
	s_mov_b64 exec, s[20:21]                                   // 000000006E64: BEFE0114
	global_atomic_add_f32 v6, v114, s[8:9] offset:8            // 000000006E68: DD348008 00087206
	global_atomic_add_f32 v6, v118, s[8:9] offset:264          // 000000006E70: DD348108 00087606
	s_mov_b64 exec, s[36:37]                                   // 000000006E78: BEFE0124
	v_mov_b32_e32 v6, v53                                      // 000000006E7C: 7E0C0335
	s_mov_b64 s[60:61], 0                                      // 000000006E80: BEBC0180
	v_readlane_b32 s82, v3, 14                                 // 000000006E84: D2890052 00011D03
	s_and_b32 s82, s82, 0xffffff                               // 000000006E8C: 8652FF52 00FFFFFF
	s_cmp_lt_u32 s82, s66                                      // 000000006E94: BF0A4252
	s_cselect_b32 s20, s36, s60                                // 000000006E98: 85143C24
	v_readlane_b32 s82, v3, 15                                 // 000000006E9C: D2890052 00011F03
	s_and_b32 s82, s82, 0xffffff                               // 000000006EA4: 8652FF52 00FFFFFF
	s_cmp_lt_u32 s82, s66                                      // 000000006EAC: BF0A4252
	s_cselect_b32 s21, s36, s60                                // 000000006EB0: 85153C24
	s_mov_b64 exec, s[20:21]                                   // 000000006EB4: BEFE0114
	global_atomic_add_f32 v6, v115, s[8:9] offset:8            // 000000006EB8: DD348008 00087306
	global_atomic_add_f32 v6, v119, s[8:9] offset:264          // 000000006EC0: DD348108 00087706
	s_mov_b64 exec, s[36:37]                                   // 000000006EC8: BEFE0124
	s_branch label_1FEB                                        // 000000006ECC: BF820EB4

0000000000006ed0 <label_1137>:
	s_waitcnt vmcnt(12) lgkmcnt(0)                             // 000000006ED0: BF8C007C
	v_mfma_f32_16x16x32_fp8_fp8 v[56:59], a[64:65], a[0:1], v[56:59]// 000000006ED4: D3F30038 1CE20140
	buffer_load_dwordx4 a[96:99], v54, s[24:27], 0 offen       // 000000006EDC: E05C1000 80866036
	v_mfma_f32_16x16x32_fp8_fp8 v[56:59], a[66:67], a[2:3], v[56:59]// 000000006EE4: D3F30038 1CE20542
	v_mfma_f32_16x16x32_fp8_fp8 v[56:59], a[68:69], a[4:5], v[56:59]// 000000006EEC: D3F30038 1CE20944
	v_mfma_f32_16x16x32_fp8_fp8 v[56:59], a[70:71], a[6:7], v[56:59]// 000000006EF4: D3F30038 1CE20D46
	v_mfma_f32_16x16x32_fp8_fp8 v[72:75], a[72:73], a[0:1], v[72:75]// 000000006EFC: D3F30048 1D220148
	buffer_load_dwordx4 a[100:103], v54, s[24:27], 0 offen offset:1024// 000000006F04: E05C1400 80866436
	v_mfma_f32_16x16x32_fp8_fp8 v[72:75], a[74:75], a[2:3], v[72:75]// 000000006F0C: D3F30048 1D22054A
	v_mfma_f32_16x16x32_fp8_fp8 v[72:75], a[76:77], a[4:5], v[72:75]// 000000006F14: D3F30048 1D22094C
	v_mfma_f32_16x16x32_fp8_fp8 v[72:75], a[78:79], a[6:7], v[72:75]// 000000006F1C: D3F30048 1D220D4E
	v_mfma_f32_16x16x32_fp8_fp8 v[60:63], a[64:65], a[8:9], v[60:63]// 000000006F24: D3F3003C 1CF21140
	buffer_load_dwordx4 a[104:107], v55, s[24:27], 0 offen     // 000000006F2C: E05C1000 80866837
	v_mfma_f32_16x16x32_fp8_fp8 v[60:63], a[66:67], a[10:11], v[60:63]// 000000006F34: D3F3003C 1CF21542
	v_mfma_f32_16x16x32_fp8_fp8 v[60:63], a[68:69], a[12:13], v[60:63]// 000000006F3C: D3F3003C 1CF21944
	v_mfma_f32_16x16x32_fp8_fp8 v[60:63], a[70:71], a[14:15], v[60:63]// 000000006F44: D3F3003C 1CF21D46
	v_mfma_f32_16x16x32_fp8_fp8 v[76:79], a[72:73], a[8:9], v[76:79]// 000000006F4C: D3F3004C 1D321148
	buffer_load_dwordx4 a[108:111], v55, s[24:27], 0 offen offset:1024// 000000006F54: E05C1400 80866C37
	buffer_load_dword v46, s[20:23], 0 offen lds               // 000000006F5C: E0511000 8005002E
	s_add_u32 m0, 0x100, s50                                   // 000000006F64: 807C32FF 00000100
	v_mfma_f32_16x16x32_fp8_fp8 v[76:79], a[74:75], a[10:11], v[76:79]// 000000006F6C: D3F3004C 1D32154A
	v_mfma_f32_16x16x32_fp8_fp8 v[76:79], a[76:77], a[12:13], v[76:79]// 000000006F74: D3F3004C 1D32194C
	buffer_load_dword v47, s[20:23], 0 offen lds               // 000000006F7C: E0511000 8005002F
	s_add_u32 m0, 0x200, s50                                   // 000000006F84: 807C32FF 00000200
	v_mfma_f32_16x16x32_fp8_fp8 v[76:79], a[78:79], a[14:15], v[76:79]// 000000006F8C: D3F3004C 1D321D4E
	v_mfma_f32_16x16x32_fp8_fp8 v[64:67], a[64:65], a[16:17], v[64:67]// 000000006F94: D3F30040 1D022140
	buffer_load_dword v48, s[20:23], 0 offen lds               // 000000006F9C: E0511000 80050030
	s_add_u32 m0, 0x300, s50                                   // 000000006FA4: 807C32FF 00000300
	v_mfma_f32_16x16x32_fp8_fp8 v[64:67], a[66:67], a[18:19], v[64:67]// 000000006FAC: D3F30040 1D022542
	v_mfma_f32_16x16x32_fp8_fp8 v[64:67], a[68:69], a[20:21], v[64:67]// 000000006FB4: D3F30040 1D022944
	buffer_load_dword v49, s[20:23], 0 offen lds               // 000000006FBC: E0511000 80050031
	s_add_u32 m0, 0x400, s50                                   // 000000006FC4: 807C32FF 00000400
	v_mfma_f32_16x16x32_fp8_fp8 v[64:67], a[70:71], a[22:23], v[64:67]// 000000006FCC: D3F30040 1D022D46
	v_mfma_f32_16x16x32_fp8_fp8 v[80:83], a[72:73], a[16:17], v[80:83]// 000000006FD4: D3F30050 1D422148
	buffer_load_dword v50, s[20:23], 0 offen lds               // 000000006FDC: E0511000 80050032
	s_add_u32 m0, 0x500, s50                                   // 000000006FE4: 807C32FF 00000500
	v_mfma_f32_16x16x32_fp8_fp8 v[80:83], a[74:75], a[18:19], v[80:83]// 000000006FEC: D3F30050 1D42254A
	v_mfma_f32_16x16x32_fp8_fp8 v[80:83], a[76:77], a[20:21], v[80:83]// 000000006FF4: D3F30050 1D42294C
	buffer_load_dword v51, s[20:23], 0 offen lds               // 000000006FFC: E0511000 80050033
	s_add_u32 m0, 0x600, s50                                   // 000000007004: 807C32FF 00000600
	v_mfma_f32_16x16x32_fp8_fp8 v[80:83], a[78:79], a[22:23], v[80:83]// 00000000700C: D3F30050 1D422D4E
	v_mfma_f32_16x16x32_fp8_fp8 v[68:71], a[64:65], a[24:25], v[68:71]// 000000007014: D3F30044 1D123140
	buffer_load_dword v52, s[20:23], 0 offen lds               // 00000000701C: E0511000 80050034
	s_add_u32 m0, 0x700, s50                                   // 000000007024: 807C32FF 00000700
	v_mfma_f32_16x16x32_fp8_fp8 v[68:71], a[66:67], a[26:27], v[68:71]// 00000000702C: D3F30044 1D123542
	v_mfma_f32_16x16x32_fp8_fp8 v[68:71], a[68:69], a[28:29], v[68:71]// 000000007034: D3F30044 1D123944
	buffer_load_dword v53, s[20:23], 0 offen lds               // 00000000703C: E0511000 80050035
	s_add_u32 m0, 0, s48                                       // 000000007044: 807C3080
	v_mfma_f32_16x16x32_fp8_fp8 v[68:71], a[70:71], a[30:31], v[68:71]// 000000007048: D3F30044 1D123D46
	v_mfma_f32_16x16x32_fp8_fp8 v[84:87], a[72:73], a[24:25], v[84:87]// 000000007050: D3F30054 1D523148
	v_mfma_f32_16x16x32_fp8_fp8 v[84:87], a[74:75], a[26:27], v[84:87]// 000000007058: D3F30054 1D52354A
	v_mfma_f32_16x16x32_fp8_fp8 v[84:87], a[76:77], a[28:29], v[84:87]// 000000007060: D3F30054 1D52394C
	v_mfma_f32_16x16x32_fp8_fp8 v[84:87], a[78:79], a[30:31], v[84:87]// 000000007068: D3F30054 1D523D4E
	s_waitcnt vmcnt(12)                                        // 000000007070: BF8C0F7C
	s_barrier                                                  // 000000007074: BF8A0000
	v_mfma_f32_16x16x32_fp8_fp8 v[88:91], a[80:81], a[0:1], v[88:91]// 000000007078: D3F30058 1D620150
	buffer_load_dwordx4 a[64:67], v54, s[84:87], 0 offen       // 000000007080: E05C1000 80954036
	v_mfma_f32_16x16x32_fp8_fp8 v[88:91], a[82:83], a[2:3], v[88:91]// 000000007088: D3F30058 1D620552
	v_mfma_f32_16x16x32_fp8_fp8 v[88:91], a[84:85], a[4:5], v[88:91]// 000000007090: D3F30058 1D620954
	ds_read_b128 a[32:35], v2 offset:8320                      // 000000007098: DBFE2080 20000002
	ds_read_b128 a[36:39], v2 offset:8384                      // 0000000070A0: DBFE20C0 24000002
	v_mfma_f32_16x16x32_fp8_fp8 v[88:91], a[86:87], a[6:7], v[88:91]// 0000000070A8: D3F30058 1D620D56
	v_mfma_f32_16x16x32_fp8_fp8 v[104:107], a[88:89], a[0:1], v[104:107]// 0000000070B0: D3F30068 1DA20158
	buffer_load_dwordx4 a[68:71], v54, s[84:87], 0 offen offset:1024// 0000000070B8: E05C1400 80954436
	v_mfma_f32_16x16x32_fp8_fp8 v[104:107], a[90:91], a[2:3], v[104:107]// 0000000070C0: D3F30068 1DA2055A
	v_mfma_f32_16x16x32_fp8_fp8 v[104:107], a[92:93], a[4:5], v[104:107]// 0000000070C8: D3F30068 1DA2095C
	ds_read_b128 a[40:43], v2 offset:8832                      // 0000000070D0: DBFE2280 28000002
	ds_read_b128 a[44:47], v2 offset:8896                      // 0000000070D8: DBFE22C0 2C000002
	v_mfma_f32_16x16x32_fp8_fp8 v[104:107], a[94:95], a[6:7], v[104:107]// 0000000070E0: D3F30068 1DA20D5E
	v_mfma_f32_16x16x32_fp8_fp8 v[92:95], a[80:81], a[8:9], v[92:95]// 0000000070E8: D3F3005C 1D721150
	buffer_load_dwordx4 a[72:75], v55, s[84:87], 0 offen       // 0000000070F0: E05C1000 80954837
	v_mfma_f32_16x16x32_fp8_fp8 v[92:95], a[82:83], a[10:11], v[92:95]// 0000000070F8: D3F3005C 1D721552
	v_mfma_f32_16x16x32_fp8_fp8 v[92:95], a[84:85], a[12:13], v[92:95]// 000000007100: D3F3005C 1D721954
	ds_read_b128 a[48:51], v2 offset:9344                      // 000000007108: DBFE2480 30000002
	ds_read_b128 a[52:55], v2 offset:9408                      // 000000007110: DBFE24C0 34000002
	v_mfma_f32_16x16x32_fp8_fp8 v[92:95], a[86:87], a[14:15], v[92:95]// 000000007118: D3F3005C 1D721D56
	v_mfma_f32_16x16x32_fp8_fp8 v[108:111], a[88:89], a[8:9], v[108:111]// 000000007120: D3F3006C 1DB21158
	buffer_load_dwordx4 a[76:79], v55, s[84:87], 0 offen offset:1024// 000000007128: E05C1400 80954C37
	v_mfma_f32_16x16x32_fp8_fp8 v[108:111], a[90:91], a[10:11], v[108:111]// 000000007130: D3F3006C 1DB2155A
	v_mfma_f32_16x16x32_fp8_fp8 v[108:111], a[92:93], a[12:13], v[108:111]// 000000007138: D3F3006C 1DB2195C
	ds_read_b128 a[56:59], v2 offset:9856                      // 000000007140: DBFE2680 38000002
	ds_read_b128 a[60:63], v2 offset:9920                      // 000000007148: DBFE26C0 3C000002
	v_mfma_f32_16x16x32_fp8_fp8 v[108:111], a[94:95], a[14:15], v[108:111]// 000000007150: D3F3006C 1DB21D5E
	v_mfma_f32_16x16x32_fp8_fp8 v[96:99], a[80:81], a[16:17], v[96:99]// 000000007158: D3F30060 1D822150
	v_mfma_f32_16x16x32_fp8_fp8 v[96:99], a[82:83], a[18:19], v[96:99]// 000000007160: D3F30060 1D822552
	v_mfma_f32_16x16x32_fp8_fp8 v[96:99], a[84:85], a[20:21], v[96:99]// 000000007168: D3F30060 1D822954
	v_mfma_f32_16x16x32_fp8_fp8 v[96:99], a[86:87], a[22:23], v[96:99]// 000000007170: D3F30060 1D822D56
	v_mfma_f32_16x16x32_fp8_fp8 v[112:115], a[88:89], a[16:17], v[112:115]// 000000007178: D3F30070 1DC22158
	v_mfma_f32_16x16x32_fp8_fp8 v[112:115], a[90:91], a[18:19], v[112:115]// 000000007180: D3F30070 1DC2255A
	v_mfma_f32_16x16x32_fp8_fp8 v[112:115], a[92:93], a[20:21], v[112:115]// 000000007188: D3F30070 1DC2295C
	v_mfma_f32_16x16x32_fp8_fp8 v[112:115], a[94:95], a[22:23], v[112:115]// 000000007190: D3F30070 1DC22D5E
	v_mfma_f32_16x16x32_fp8_fp8 v[100:103], a[80:81], a[24:25], v[100:103]// 000000007198: D3F30064 1D923150
	s_add_u32 s60, 0x180, s80                                  // 0000000071A0: 803C50FF 00000180
	s_cmp_lt_u32 s60, s81                                      // 0000000071A8: BF0A513C
	s_cselect_b32 s57, s57, 0                                  // 0000000071AC: 85398039
	v_mfma_f32_16x16x32_fp8_fp8 v[100:103], a[82:83], a[26:27], v[100:103]// 0000000071B0: D3F30064 1D923552
	s_add_u32 s60, 0x100, s80                                  // 0000000071B8: 803C50FF 00000100
	s_cmp_lt_u32 s60, s81                                      // 0000000071C0: BF0A513C
	s_cselect_b32 s58, s58, 0                                  // 0000000071C4: 853A803A
	v_mfma_f32_16x16x32_fp8_fp8 v[100:103], a[84:85], a[28:29], v[100:103]// 0000000071C8: D3F30064 1D923954
	s_add_u32 s60, 0x100, s80                                  // 0000000071D0: 803C50FF 00000100
	s_cmp_lt_u32 s60, s81                                      // 0000000071D8: BF0A513C
	s_cselect_b32 s83, s83, 0                                  // 0000000071DC: 85538053
	v_mfma_f32_16x16x32_fp8_fp8 v[100:103], a[86:87], a[30:31], v[100:103]// 0000000071E0: D3F30064 1D923D56
	s_add_u32 s24, s58, s24                                    // 0000000071E8: 8018183A
	s_addc_u32 s25, 0, s25                                     // 0000000071EC: 82191980
	v_mfma_f32_16x16x32_fp8_fp8 v[116:119], a[88:89], a[24:25], v[116:119]// 0000000071F0: D3F30074 1DD23158
	s_add_u32 s20, s57, s20                                    // 0000000071F8: 80141439
	s_addc_u32 s21, 0, s21                                     // 0000000071FC: 82151580
	v_mfma_f32_16x16x32_fp8_fp8 v[116:119], a[90:91], a[26:27], v[116:119]// 000000007200: D3F30074 1DD2355A
	s_add_u32 s84, s83, s84                                    // 000000007208: 80545453
	s_addc_u32 s85, 0, s85                                     // 00000000720C: 82555580
	v_mfma_f32_16x16x32_fp8_fp8 v[116:119], a[92:93], a[28:29], v[116:119]// 000000007210: D3F30074 1DD2395C
	v_mfma_f32_16x16x32_fp8_fp8 v[116:119], a[94:95], a[30:31], v[116:119]// 000000007218: D3F30074 1DD23D5E
	s_addk_i32 s80, 0x80                                       // 000000007220: B7500080
	s_cmp_lt_i32 s80, s81                                      // 000000007224: BF045150
	s_cbranch_scc0 label_1642                                  // 000000007228: BF840434
	s_waitcnt vmcnt(12) lgkmcnt(0)                             // 00000000722C: BF8C007C
	v_mfma_f32_16x16x32_fp8_fp8 v[56:59], a[96:97], a[32:33], v[56:59]// 000000007230: D3F30038 1CE24160
	buffer_load_dwordx4 a[80:83], v54, s[24:27], 0 offen       // 000000007238: E05C1000 80865036
	v_mfma_f32_16x16x32_fp8_fp8 v[56:59], a[98:99], a[34:35], v[56:59]// 000000007240: D3F30038 1CE24562
	v_mfma_f32_16x16x32_fp8_fp8 v[56:59], a[100:101], a[36:37], v[56:59]// 000000007248: D3F30038 1CE24964
	v_mfma_f32_16x16x32_fp8_fp8 v[56:59], a[102:103], a[38:39], v[56:59]// 000000007250: D3F30038 1CE24D66
	v_mfma_f32_16x16x32_fp8_fp8 v[72:75], a[104:105], a[32:33], v[72:75]// 000000007258: D3F30048 1D224168
	buffer_load_dwordx4 a[84:87], v54, s[24:27], 0 offen offset:1024// 000000007260: E05C1400 80865436
	v_mfma_f32_16x16x32_fp8_fp8 v[72:75], a[106:107], a[34:35], v[72:75]// 000000007268: D3F30048 1D22456A
	v_mfma_f32_16x16x32_fp8_fp8 v[72:75], a[108:109], a[36:37], v[72:75]// 000000007270: D3F30048 1D22496C
	v_mfma_f32_16x16x32_fp8_fp8 v[72:75], a[110:111], a[38:39], v[72:75]// 000000007278: D3F30048 1D224D6E
	v_mfma_f32_16x16x32_fp8_fp8 v[60:63], a[96:97], a[40:41], v[60:63]// 000000007280: D3F3003C 1CF25160
	buffer_load_dwordx4 a[88:91], v55, s[24:27], 0 offen       // 000000007288: E05C1000 80865837
	v_mfma_f32_16x16x32_fp8_fp8 v[60:63], a[98:99], a[42:43], v[60:63]// 000000007290: D3F3003C 1CF25562
	v_mfma_f32_16x16x32_fp8_fp8 v[60:63], a[100:101], a[44:45], v[60:63]// 000000007298: D3F3003C 1CF25964
	v_mfma_f32_16x16x32_fp8_fp8 v[60:63], a[102:103], a[46:47], v[60:63]// 0000000072A0: D3F3003C 1CF25D66
	v_mfma_f32_16x16x32_fp8_fp8 v[76:79], a[104:105], a[40:41], v[76:79]// 0000000072A8: D3F3004C 1D325168
	buffer_load_dwordx4 a[92:95], v55, s[24:27], 0 offen offset:1024// 0000000072B0: E05C1400 80865C37
	buffer_load_dword v46, s[20:23], 0 offen lds               // 0000000072B8: E0511000 8005002E
	s_add_u32 m0, 0x100, s48                                   // 0000000072C0: 807C30FF 00000100
	v_mfma_f32_16x16x32_fp8_fp8 v[76:79], a[106:107], a[42:43], v[76:79]// 0000000072C8: D3F3004C 1D32556A
	v_mfma_f32_16x16x32_fp8_fp8 v[76:79], a[108:109], a[44:45], v[76:79]// 0000000072D0: D3F3004C 1D32596C
	buffer_load_dword v47, s[20:23], 0 offen lds               // 0000000072D8: E0511000 8005002F
	s_add_u32 m0, 0x200, s48                                   // 0000000072E0: 807C30FF 00000200
	v_mfma_f32_16x16x32_fp8_fp8 v[76:79], a[110:111], a[46:47], v[76:79]// 0000000072E8: D3F3004C 1D325D6E
	v_mfma_f32_16x16x32_fp8_fp8 v[64:67], a[96:97], a[48:49], v[64:67]// 0000000072F0: D3F30040 1D026160
	buffer_load_dword v48, s[20:23], 0 offen lds               // 0000000072F8: E0511000 80050030
	s_add_u32 m0, 0x300, s48                                   // 000000007300: 807C30FF 00000300
	v_mfma_f32_16x16x32_fp8_fp8 v[64:67], a[98:99], a[50:51], v[64:67]// 000000007308: D3F30040 1D026562
	v_mfma_f32_16x16x32_fp8_fp8 v[64:67], a[100:101], a[52:53], v[64:67]// 000000007310: D3F30040 1D026964
	buffer_load_dword v49, s[20:23], 0 offen lds               // 000000007318: E0511000 80050031
	s_add_u32 m0, 0x400, s48                                   // 000000007320: 807C30FF 00000400
	v_mfma_f32_16x16x32_fp8_fp8 v[64:67], a[102:103], a[54:55], v[64:67]// 000000007328: D3F30040 1D026D66
	v_mfma_f32_16x16x32_fp8_fp8 v[80:83], a[104:105], a[48:49], v[80:83]// 000000007330: D3F30050 1D426168
	buffer_load_dword v50, s[20:23], 0 offen lds               // 000000007338: E0511000 80050032
	s_add_u32 m0, 0x500, s48                                   // 000000007340: 807C30FF 00000500
	v_mfma_f32_16x16x32_fp8_fp8 v[80:83], a[106:107], a[50:51], v[80:83]// 000000007348: D3F30050 1D42656A
	v_mfma_f32_16x16x32_fp8_fp8 v[80:83], a[108:109], a[52:53], v[80:83]// 000000007350: D3F30050 1D42696C
	buffer_load_dword v51, s[20:23], 0 offen lds               // 000000007358: E0511000 80050033
	s_add_u32 m0, 0x600, s48                                   // 000000007360: 807C30FF 00000600
	v_mfma_f32_16x16x32_fp8_fp8 v[80:83], a[110:111], a[54:55], v[80:83]// 000000007368: D3F30050 1D426D6E
	v_mfma_f32_16x16x32_fp8_fp8 v[68:71], a[96:97], a[56:57], v[68:71]// 000000007370: D3F30044 1D127160
	buffer_load_dword v52, s[20:23], 0 offen lds               // 000000007378: E0511000 80050034
	s_add_u32 m0, 0x700, s48                                   // 000000007380: 807C30FF 00000700
	v_mfma_f32_16x16x32_fp8_fp8 v[68:71], a[98:99], a[58:59], v[68:71]// 000000007388: D3F30044 1D127562
	v_mfma_f32_16x16x32_fp8_fp8 v[68:71], a[100:101], a[60:61], v[68:71]// 000000007390: D3F30044 1D127964
	buffer_load_dword v53, s[20:23], 0 offen lds               // 000000007398: E0511000 80050035
	s_add_u32 m0, 0, s49                                       // 0000000073A0: 807C3180
	v_mfma_f32_16x16x32_fp8_fp8 v[68:71], a[102:103], a[62:63], v[68:71]// 0000000073A4: D3F30044 1D127D66
	v_mfma_f32_16x16x32_fp8_fp8 v[84:87], a[104:105], a[56:57], v[84:87]// 0000000073AC: D3F30054 1D527168
	v_mfma_f32_16x16x32_fp8_fp8 v[84:87], a[106:107], a[58:59], v[84:87]// 0000000073B4: D3F30054 1D52756A
	v_mfma_f32_16x16x32_fp8_fp8 v[84:87], a[108:109], a[60:61], v[84:87]// 0000000073BC: D3F30054 1D52796C
	v_mfma_f32_16x16x32_fp8_fp8 v[84:87], a[110:111], a[62:63], v[84:87]// 0000000073C4: D3F30054 1D527D6E
	s_waitcnt vmcnt(12)                                        // 0000000073CC: BF8C0F7C
	s_barrier                                                  // 0000000073D0: BF8A0000
	v_mfma_f32_16x16x32_fp8_fp8 v[88:91], a[64:65], a[32:33], v[88:91]// 0000000073D4: D3F30058 1D624140
	buffer_load_dwordx4 a[96:99], v54, s[84:87], 0 offen       // 0000000073DC: E05C1000 80956036
	v_mfma_f32_16x16x32_fp8_fp8 v[88:91], a[66:67], a[34:35], v[88:91]// 0000000073E4: D3F30058 1D624542
	v_mfma_f32_16x16x32_fp8_fp8 v[88:91], a[68:69], a[36:37], v[88:91]// 0000000073EC: D3F30058 1D624944
	ds_read_b128 a[0:3], v2 offset:16640                       // 0000000073F4: DBFE4100 00000002
	ds_read_b128 a[4:7], v2 offset:16704                       // 0000000073FC: DBFE4140 04000002
	v_mfma_f32_16x16x32_fp8_fp8 v[88:91], a[70:71], a[38:39], v[88:91]// 000000007404: D3F30058 1D624D46
	v_mfma_f32_16x16x32_fp8_fp8 v[104:107], a[72:73], a[32:33], v[104:107]// 00000000740C: D3F30068 1DA24148
	buffer_load_dwordx4 a[100:103], v54, s[84:87], 0 offen offset:1024// 000000007414: E05C1400 80956436
	v_mfma_f32_16x16x32_fp8_fp8 v[104:107], a[74:75], a[34:35], v[104:107]// 00000000741C: D3F30068 1DA2454A
	v_mfma_f32_16x16x32_fp8_fp8 v[104:107], a[76:77], a[36:37], v[104:107]// 000000007424: D3F30068 1DA2494C
	ds_read_b128 a[8:11], v2 offset:17152                      // 00000000742C: DBFE4300 08000002
	ds_read_b128 a[12:15], v2 offset:17216                     // 000000007434: DBFE4340 0C000002
	v_mfma_f32_16x16x32_fp8_fp8 v[104:107], a[78:79], a[38:39], v[104:107]// 00000000743C: D3F30068 1DA24D4E
	v_mfma_f32_16x16x32_fp8_fp8 v[92:95], a[64:65], a[40:41], v[92:95]// 000000007444: D3F3005C 1D725140
	buffer_load_dwordx4 a[104:107], v55, s[84:87], 0 offen     // 00000000744C: E05C1000 80956837
	v_mfma_f32_16x16x32_fp8_fp8 v[92:95], a[66:67], a[42:43], v[92:95]// 000000007454: D3F3005C 1D725542
	v_mfma_f32_16x16x32_fp8_fp8 v[92:95], a[68:69], a[44:45], v[92:95]// 00000000745C: D3F3005C 1D725944
	ds_read_b128 a[16:19], v2 offset:17664                     // 000000007464: DBFE4500 10000002
	ds_read_b128 a[20:23], v2 offset:17728                     // 00000000746C: DBFE4540 14000002
	v_mfma_f32_16x16x32_fp8_fp8 v[92:95], a[70:71], a[46:47], v[92:95]// 000000007474: D3F3005C 1D725D46
	v_mfma_f32_16x16x32_fp8_fp8 v[108:111], a[72:73], a[40:41], v[108:111]// 00000000747C: D3F3006C 1DB25148
	buffer_load_dwordx4 a[108:111], v55, s[84:87], 0 offen offset:1024// 000000007484: E05C1400 80956C37
	v_mfma_f32_16x16x32_fp8_fp8 v[108:111], a[74:75], a[42:43], v[108:111]// 00000000748C: D3F3006C 1DB2554A
	v_mfma_f32_16x16x32_fp8_fp8 v[108:111], a[76:77], a[44:45], v[108:111]// 000000007494: D3F3006C 1DB2594C
	ds_read_b128 a[24:27], v2 offset:18176                     // 00000000749C: DBFE4700 18000002
	ds_read_b128 a[28:31], v2 offset:18240                     // 0000000074A4: DBFE4740 1C000002
	v_mfma_f32_16x16x32_fp8_fp8 v[108:111], a[78:79], a[46:47], v[108:111]// 0000000074AC: D3F3006C 1DB25D4E
	v_mfma_f32_16x16x32_fp8_fp8 v[96:99], a[64:65], a[48:49], v[96:99]// 0000000074B4: D3F30060 1D826140
	v_mfma_f32_16x16x32_fp8_fp8 v[96:99], a[66:67], a[50:51], v[96:99]// 0000000074BC: D3F30060 1D826542
	v_mfma_f32_16x16x32_fp8_fp8 v[96:99], a[68:69], a[52:53], v[96:99]// 0000000074C4: D3F30060 1D826944
	v_mfma_f32_16x16x32_fp8_fp8 v[96:99], a[70:71], a[54:55], v[96:99]// 0000000074CC: D3F30060 1D826D46
	v_mfma_f32_16x16x32_fp8_fp8 v[112:115], a[72:73], a[48:49], v[112:115]// 0000000074D4: D3F30070 1DC26148
	v_mfma_f32_16x16x32_fp8_fp8 v[112:115], a[74:75], a[50:51], v[112:115]// 0000000074DC: D3F30070 1DC2654A
	v_mfma_f32_16x16x32_fp8_fp8 v[112:115], a[76:77], a[52:53], v[112:115]// 0000000074E4: D3F30070 1DC2694C
	v_mfma_f32_16x16x32_fp8_fp8 v[112:115], a[78:79], a[54:55], v[112:115]// 0000000074EC: D3F30070 1DC26D4E
	v_mfma_f32_16x16x32_fp8_fp8 v[100:103], a[64:65], a[56:57], v[100:103]// 0000000074F4: D3F30064 1D927140
	s_add_u32 s60, 0x180, s80                                  // 0000000074FC: 803C50FF 00000180
	s_cmp_lt_u32 s60, s81                                      // 000000007504: BF0A513C
	s_cselect_b32 s57, s57, 0                                  // 000000007508: 85398039
	v_mfma_f32_16x16x32_fp8_fp8 v[100:103], a[66:67], a[58:59], v[100:103]// 00000000750C: D3F30064 1D927542
	s_add_u32 s60, 0x100, s80                                  // 000000007514: 803C50FF 00000100
	s_cmp_lt_u32 s60, s81                                      // 00000000751C: BF0A513C
	s_cselect_b32 s58, s58, 0                                  // 000000007520: 853A803A
	v_mfma_f32_16x16x32_fp8_fp8 v[100:103], a[68:69], a[60:61], v[100:103]// 000000007524: D3F30064 1D927944
	s_add_u32 s60, 0x100, s80                                  // 00000000752C: 803C50FF 00000100
	s_cmp_lt_u32 s60, s81                                      // 000000007534: BF0A513C
	s_cselect_b32 s83, s83, 0                                  // 000000007538: 85538053
	v_mfma_f32_16x16x32_fp8_fp8 v[100:103], a[70:71], a[62:63], v[100:103]// 00000000753C: D3F30064 1D927D46
	s_add_u32 s24, s58, s24                                    // 000000007544: 8018183A
	s_addc_u32 s25, 0, s25                                     // 000000007548: 82191980
	v_mfma_f32_16x16x32_fp8_fp8 v[116:119], a[72:73], a[56:57], v[116:119]// 00000000754C: D3F30074 1DD27148
	s_add_u32 s20, s57, s20                                    // 000000007554: 80141439
	s_addc_u32 s21, 0, s21                                     // 000000007558: 82151580
	v_mfma_f32_16x16x32_fp8_fp8 v[116:119], a[74:75], a[58:59], v[116:119]// 00000000755C: D3F30074 1DD2754A
	s_add_u32 s84, s83, s84                                    // 000000007564: 80545453
	s_addc_u32 s85, 0, s85                                     // 000000007568: 82555580
	v_mfma_f32_16x16x32_fp8_fp8 v[116:119], a[76:77], a[60:61], v[116:119]// 00000000756C: D3F30074 1DD2794C
	v_mfma_f32_16x16x32_fp8_fp8 v[116:119], a[78:79], a[62:63], v[116:119]// 000000007574: D3F30074 1DD27D4E
	s_addk_i32 s80, 0x80                                       // 00000000757C: B7500080
	s_cmp_lt_i32 s80, s81                                      // 000000007580: BF045150
	s_cbranch_scc0 label_1642                                  // 000000007584: BF84035D
	s_waitcnt vmcnt(12) lgkmcnt(0)                             // 000000007588: BF8C007C
	v_mfma_f32_16x16x32_fp8_fp8 v[56:59], a[80:81], a[0:1], v[56:59]// 00000000758C: D3F30038 1CE20150
	buffer_load_dwordx4 a[64:67], v54, s[24:27], 0 offen       // 000000007594: E05C1000 80864036
	v_mfma_f32_16x16x32_fp8_fp8 v[56:59], a[82:83], a[2:3], v[56:59]// 00000000759C: D3F30038 1CE20552
	v_mfma_f32_16x16x32_fp8_fp8 v[56:59], a[84:85], a[4:5], v[56:59]// 0000000075A4: D3F30038 1CE20954
	v_mfma_f32_16x16x32_fp8_fp8 v[56:59], a[86:87], a[6:7], v[56:59]// 0000000075AC: D3F30038 1CE20D56
	v_mfma_f32_16x16x32_fp8_fp8 v[72:75], a[88:89], a[0:1], v[72:75]// 0000000075B4: D3F30048 1D220158
	buffer_load_dwordx4 a[68:71], v54, s[24:27], 0 offen offset:1024// 0000000075BC: E05C1400 80864436
	v_mfma_f32_16x16x32_fp8_fp8 v[72:75], a[90:91], a[2:3], v[72:75]// 0000000075C4: D3F30048 1D22055A
	v_mfma_f32_16x16x32_fp8_fp8 v[72:75], a[92:93], a[4:5], v[72:75]// 0000000075CC: D3F30048 1D22095C
	v_mfma_f32_16x16x32_fp8_fp8 v[72:75], a[94:95], a[6:7], v[72:75]// 0000000075D4: D3F30048 1D220D5E
	v_mfma_f32_16x16x32_fp8_fp8 v[60:63], a[80:81], a[8:9], v[60:63]// 0000000075DC: D3F3003C 1CF21150
	buffer_load_dwordx4 a[72:75], v55, s[24:27], 0 offen       // 0000000075E4: E05C1000 80864837
	v_mfma_f32_16x16x32_fp8_fp8 v[60:63], a[82:83], a[10:11], v[60:63]// 0000000075EC: D3F3003C 1CF21552
	v_mfma_f32_16x16x32_fp8_fp8 v[60:63], a[84:85], a[12:13], v[60:63]// 0000000075F4: D3F3003C 1CF21954
	v_mfma_f32_16x16x32_fp8_fp8 v[60:63], a[86:87], a[14:15], v[60:63]// 0000000075FC: D3F3003C 1CF21D56
	v_mfma_f32_16x16x32_fp8_fp8 v[76:79], a[88:89], a[8:9], v[76:79]// 000000007604: D3F3004C 1D321158
	buffer_load_dwordx4 a[76:79], v55, s[24:27], 0 offen offset:1024// 00000000760C: E05C1400 80864C37
	buffer_load_dword v46, s[20:23], 0 offen lds               // 000000007614: E0511000 8005002E
	s_add_u32 m0, 0x100, s49                                   // 00000000761C: 807C31FF 00000100
	v_mfma_f32_16x16x32_fp8_fp8 v[76:79], a[90:91], a[10:11], v[76:79]// 000000007624: D3F3004C 1D32155A
	v_mfma_f32_16x16x32_fp8_fp8 v[76:79], a[92:93], a[12:13], v[76:79]// 00000000762C: D3F3004C 1D32195C
	buffer_load_dword v47, s[20:23], 0 offen lds               // 000000007634: E0511000 8005002F
	s_add_u32 m0, 0x200, s49                                   // 00000000763C: 807C31FF 00000200
	v_mfma_f32_16x16x32_fp8_fp8 v[76:79], a[94:95], a[14:15], v[76:79]// 000000007644: D3F3004C 1D321D5E
	v_mfma_f32_16x16x32_fp8_fp8 v[64:67], a[80:81], a[16:17], v[64:67]// 00000000764C: D3F30040 1D022150
	buffer_load_dword v48, s[20:23], 0 offen lds               // 000000007654: E0511000 80050030
	s_add_u32 m0, 0x300, s49                                   // 00000000765C: 807C31FF 00000300
	v_mfma_f32_16x16x32_fp8_fp8 v[64:67], a[82:83], a[18:19], v[64:67]// 000000007664: D3F30040 1D022552
	v_mfma_f32_16x16x32_fp8_fp8 v[64:67], a[84:85], a[20:21], v[64:67]// 00000000766C: D3F30040 1D022954
	buffer_load_dword v49, s[20:23], 0 offen lds               // 000000007674: E0511000 80050031
	s_add_u32 m0, 0x400, s49                                   // 00000000767C: 807C31FF 00000400
	v_mfma_f32_16x16x32_fp8_fp8 v[64:67], a[86:87], a[22:23], v[64:67]// 000000007684: D3F30040 1D022D56
	v_mfma_f32_16x16x32_fp8_fp8 v[80:83], a[88:89], a[16:17], v[80:83]// 00000000768C: D3F30050 1D422158
	buffer_load_dword v50, s[20:23], 0 offen lds               // 000000007694: E0511000 80050032
	s_add_u32 m0, 0x500, s49                                   // 00000000769C: 807C31FF 00000500
	v_mfma_f32_16x16x32_fp8_fp8 v[80:83], a[90:91], a[18:19], v[80:83]// 0000000076A4: D3F30050 1D42255A
	v_mfma_f32_16x16x32_fp8_fp8 v[80:83], a[92:93], a[20:21], v[80:83]// 0000000076AC: D3F30050 1D42295C
	buffer_load_dword v51, s[20:23], 0 offen lds               // 0000000076B4: E0511000 80050033
	s_add_u32 m0, 0x600, s49                                   // 0000000076BC: 807C31FF 00000600
	v_mfma_f32_16x16x32_fp8_fp8 v[80:83], a[94:95], a[22:23], v[80:83]// 0000000076C4: D3F30050 1D422D5E
	v_mfma_f32_16x16x32_fp8_fp8 v[68:71], a[80:81], a[24:25], v[68:71]// 0000000076CC: D3F30044 1D123150
	buffer_load_dword v52, s[20:23], 0 offen lds               // 0000000076D4: E0511000 80050034
	s_add_u32 m0, 0x700, s49                                   // 0000000076DC: 807C31FF 00000700
	v_mfma_f32_16x16x32_fp8_fp8 v[68:71], a[82:83], a[26:27], v[68:71]// 0000000076E4: D3F30044 1D123552
	v_mfma_f32_16x16x32_fp8_fp8 v[68:71], a[84:85], a[28:29], v[68:71]// 0000000076EC: D3F30044 1D123954
	buffer_load_dword v53, s[20:23], 0 offen lds               // 0000000076F4: E0511000 80050035
	s_add_u32 m0, 0, s50                                       // 0000000076FC: 807C3280
	v_mfma_f32_16x16x32_fp8_fp8 v[68:71], a[86:87], a[30:31], v[68:71]// 000000007700: D3F30044 1D123D56
	v_mfma_f32_16x16x32_fp8_fp8 v[84:87], a[88:89], a[24:25], v[84:87]// 000000007708: D3F30054 1D523158
	v_mfma_f32_16x16x32_fp8_fp8 v[84:87], a[90:91], a[26:27], v[84:87]// 000000007710: D3F30054 1D52355A
	v_mfma_f32_16x16x32_fp8_fp8 v[84:87], a[92:93], a[28:29], v[84:87]// 000000007718: D3F30054 1D52395C
	v_mfma_f32_16x16x32_fp8_fp8 v[84:87], a[94:95], a[30:31], v[84:87]// 000000007720: D3F30054 1D523D5E
	s_waitcnt vmcnt(12)                                        // 000000007728: BF8C0F7C
	s_barrier                                                  // 00000000772C: BF8A0000
	v_mfma_f32_16x16x32_fp8_fp8 v[88:91], a[96:97], a[0:1], v[88:91]// 000000007730: D3F30058 1D620160
	buffer_load_dwordx4 a[80:83], v54, s[84:87], 0 offen       // 000000007738: E05C1000 80955036
	v_mfma_f32_16x16x32_fp8_fp8 v[88:91], a[98:99], a[2:3], v[88:91]// 000000007740: D3F30058 1D620562
	v_mfma_f32_16x16x32_fp8_fp8 v[88:91], a[100:101], a[4:5], v[88:91]// 000000007748: D3F30058 1D620964
	ds_read_b128 a[32:35], v2                                  // 000000007750: DBFE0000 20000002
	ds_read_b128 a[36:39], v2 offset:64                        // 000000007758: DBFE0040 24000002
	v_mfma_f32_16x16x32_fp8_fp8 v[88:91], a[102:103], a[6:7], v[88:91]// 000000007760: D3F30058 1D620D66
	v_mfma_f32_16x16x32_fp8_fp8 v[104:107], a[104:105], a[0:1], v[104:107]// 000000007768: D3F30068 1DA20168
	buffer_load_dwordx4 a[84:87], v54, s[84:87], 0 offen offset:1024// 000000007770: E05C1400 80955436
	v_mfma_f32_16x16x32_fp8_fp8 v[104:107], a[106:107], a[2:3], v[104:107]// 000000007778: D3F30068 1DA2056A
	v_mfma_f32_16x16x32_fp8_fp8 v[104:107], a[108:109], a[4:5], v[104:107]// 000000007780: D3F30068 1DA2096C
	ds_read_b128 a[40:43], v2 offset:512                       // 000000007788: DBFE0200 28000002
	ds_read_b128 a[44:47], v2 offset:576                       // 000000007790: DBFE0240 2C000002
	v_mfma_f32_16x16x32_fp8_fp8 v[104:107], a[110:111], a[6:7], v[104:107]// 000000007798: D3F30068 1DA20D6E
	v_mfma_f32_16x16x32_fp8_fp8 v[92:95], a[96:97], a[8:9], v[92:95]// 0000000077A0: D3F3005C 1D721160
	buffer_load_dwordx4 a[88:91], v55, s[84:87], 0 offen       // 0000000077A8: E05C1000 80955837
	v_mfma_f32_16x16x32_fp8_fp8 v[92:95], a[98:99], a[10:11], v[92:95]// 0000000077B0: D3F3005C 1D721562
	v_mfma_f32_16x16x32_fp8_fp8 v[92:95], a[100:101], a[12:13], v[92:95]// 0000000077B8: D3F3005C 1D721964
	ds_read_b128 a[48:51], v2 offset:1024                      // 0000000077C0: DBFE0400 30000002
	ds_read_b128 a[52:55], v2 offset:1088                      // 0000000077C8: DBFE0440 34000002
	v_mfma_f32_16x16x32_fp8_fp8 v[92:95], a[102:103], a[14:15], v[92:95]// 0000000077D0: D3F3005C 1D721D66
	v_mfma_f32_16x16x32_fp8_fp8 v[108:111], a[104:105], a[8:9], v[108:111]// 0000000077D8: D3F3006C 1DB21168
	buffer_load_dwordx4 a[92:95], v55, s[84:87], 0 offen offset:1024// 0000000077E0: E05C1400 80955C37
	v_mfma_f32_16x16x32_fp8_fp8 v[108:111], a[106:107], a[10:11], v[108:111]// 0000000077E8: D3F3006C 1DB2156A
	v_mfma_f32_16x16x32_fp8_fp8 v[108:111], a[108:109], a[12:13], v[108:111]// 0000000077F0: D3F3006C 1DB2196C
	ds_read_b128 a[56:59], v2 offset:1536                      // 0000000077F8: DBFE0600 38000002
	ds_read_b128 a[60:63], v2 offset:1600                      // 000000007800: DBFE0640 3C000002
	v_mfma_f32_16x16x32_fp8_fp8 v[108:111], a[110:111], a[14:15], v[108:111]// 000000007808: D3F3006C 1DB21D6E
	v_mfma_f32_16x16x32_fp8_fp8 v[96:99], a[96:97], a[16:17], v[96:99]// 000000007810: D3F30060 1D822160
	v_mfma_f32_16x16x32_fp8_fp8 v[96:99], a[98:99], a[18:19], v[96:99]// 000000007818: D3F30060 1D822562
	v_mfma_f32_16x16x32_fp8_fp8 v[96:99], a[100:101], a[20:21], v[96:99]// 000000007820: D3F30060 1D822964
	v_mfma_f32_16x16x32_fp8_fp8 v[96:99], a[102:103], a[22:23], v[96:99]// 000000007828: D3F30060 1D822D66
	v_mfma_f32_16x16x32_fp8_fp8 v[112:115], a[104:105], a[16:17], v[112:115]// 000000007830: D3F30070 1DC22168
	v_mfma_f32_16x16x32_fp8_fp8 v[112:115], a[106:107], a[18:19], v[112:115]// 000000007838: D3F30070 1DC2256A
	v_mfma_f32_16x16x32_fp8_fp8 v[112:115], a[108:109], a[20:21], v[112:115]// 000000007840: D3F30070 1DC2296C
	v_mfma_f32_16x16x32_fp8_fp8 v[112:115], a[110:111], a[22:23], v[112:115]// 000000007848: D3F30070 1DC22D6E
	v_mfma_f32_16x16x32_fp8_fp8 v[100:103], a[96:97], a[24:25], v[100:103]// 000000007850: D3F30064 1D923160
	s_add_u32 s60, 0x180, s80                                  // 000000007858: 803C50FF 00000180
	s_cmp_lt_u32 s60, s81                                      // 000000007860: BF0A513C
	s_cselect_b32 s57, s57, 0                                  // 000000007864: 85398039
	v_mfma_f32_16x16x32_fp8_fp8 v[100:103], a[98:99], a[26:27], v[100:103]// 000000007868: D3F30064 1D923562
	s_add_u32 s60, 0x100, s80                                  // 000000007870: 803C50FF 00000100
	s_cmp_lt_u32 s60, s81                                      // 000000007878: BF0A513C
	s_cselect_b32 s58, s58, 0                                  // 00000000787C: 853A803A
	v_mfma_f32_16x16x32_fp8_fp8 v[100:103], a[100:101], a[28:29], v[100:103]// 000000007880: D3F30064 1D923964
	s_add_u32 s60, 0x100, s80                                  // 000000007888: 803C50FF 00000100
	s_cmp_lt_u32 s60, s81                                      // 000000007890: BF0A513C
	s_cselect_b32 s83, s83, 0                                  // 000000007894: 85538053
	v_mfma_f32_16x16x32_fp8_fp8 v[100:103], a[102:103], a[30:31], v[100:103]// 000000007898: D3F30064 1D923D66
	s_add_u32 s24, s58, s24                                    // 0000000078A0: 8018183A
	s_addc_u32 s25, 0, s25                                     // 0000000078A4: 82191980
	v_mfma_f32_16x16x32_fp8_fp8 v[116:119], a[104:105], a[24:25], v[116:119]// 0000000078A8: D3F30074 1DD23168
	s_add_u32 s20, s57, s20                                    // 0000000078B0: 80141439
	s_addc_u32 s21, 0, s21                                     // 0000000078B4: 82151580
	v_mfma_f32_16x16x32_fp8_fp8 v[116:119], a[106:107], a[26:27], v[116:119]// 0000000078B8: D3F30074 1DD2356A
	s_add_u32 s84, s83, s84                                    // 0000000078C0: 80545453
	s_addc_u32 s85, 0, s85                                     // 0000000078C4: 82555580
	v_mfma_f32_16x16x32_fp8_fp8 v[116:119], a[108:109], a[28:29], v[116:119]// 0000000078C8: D3F30074 1DD2396C
	v_mfma_f32_16x16x32_fp8_fp8 v[116:119], a[110:111], a[30:31], v[116:119]// 0000000078D0: D3F30074 1DD23D6E
	s_addk_i32 s80, 0x80                                       // 0000000078D8: B7500080
	s_cmp_lt_i32 s80, s81                                      // 0000000078DC: BF045150
	s_cbranch_scc0 label_1642                                  // 0000000078E0: BF840286
	s_waitcnt vmcnt(12) lgkmcnt(0)                             // 0000000078E4: BF8C007C
	v_mfma_f32_16x16x32_fp8_fp8 v[56:59], a[64:65], a[32:33], v[56:59]// 0000000078E8: D3F30038 1CE24140
	buffer_load_dwordx4 a[96:99], v54, s[24:27], 0 offen       // 0000000078F0: E05C1000 80866036
	v_mfma_f32_16x16x32_fp8_fp8 v[56:59], a[66:67], a[34:35], v[56:59]// 0000000078F8: D3F30038 1CE24542
	v_mfma_f32_16x16x32_fp8_fp8 v[56:59], a[68:69], a[36:37], v[56:59]// 000000007900: D3F30038 1CE24944
	v_mfma_f32_16x16x32_fp8_fp8 v[56:59], a[70:71], a[38:39], v[56:59]// 000000007908: D3F30038 1CE24D46
	v_mfma_f32_16x16x32_fp8_fp8 v[72:75], a[72:73], a[32:33], v[72:75]// 000000007910: D3F30048 1D224148
	buffer_load_dwordx4 a[100:103], v54, s[24:27], 0 offen offset:1024// 000000007918: E05C1400 80866436
	v_mfma_f32_16x16x32_fp8_fp8 v[72:75], a[74:75], a[34:35], v[72:75]// 000000007920: D3F30048 1D22454A
	v_mfma_f32_16x16x32_fp8_fp8 v[72:75], a[76:77], a[36:37], v[72:75]// 000000007928: D3F30048 1D22494C
	v_mfma_f32_16x16x32_fp8_fp8 v[72:75], a[78:79], a[38:39], v[72:75]// 000000007930: D3F30048 1D224D4E
	v_mfma_f32_16x16x32_fp8_fp8 v[60:63], a[64:65], a[40:41], v[60:63]// 000000007938: D3F3003C 1CF25140
	buffer_load_dwordx4 a[104:107], v55, s[24:27], 0 offen     // 000000007940: E05C1000 80866837
	v_mfma_f32_16x16x32_fp8_fp8 v[60:63], a[66:67], a[42:43], v[60:63]// 000000007948: D3F3003C 1CF25542
	v_mfma_f32_16x16x32_fp8_fp8 v[60:63], a[68:69], a[44:45], v[60:63]// 000000007950: D3F3003C 1CF25944
	v_mfma_f32_16x16x32_fp8_fp8 v[60:63], a[70:71], a[46:47], v[60:63]// 000000007958: D3F3003C 1CF25D46
	v_mfma_f32_16x16x32_fp8_fp8 v[76:79], a[72:73], a[40:41], v[76:79]// 000000007960: D3F3004C 1D325148
	buffer_load_dwordx4 a[108:111], v55, s[24:27], 0 offen offset:1024// 000000007968: E05C1400 80866C37
	buffer_load_dword v46, s[20:23], 0 offen lds               // 000000007970: E0511000 8005002E
	s_add_u32 m0, 0x100, s50                                   // 000000007978: 807C32FF 00000100
	v_mfma_f32_16x16x32_fp8_fp8 v[76:79], a[74:75], a[42:43], v[76:79]// 000000007980: D3F3004C 1D32554A
	v_mfma_f32_16x16x32_fp8_fp8 v[76:79], a[76:77], a[44:45], v[76:79]// 000000007988: D3F3004C 1D32594C
	buffer_load_dword v47, s[20:23], 0 offen lds               // 000000007990: E0511000 8005002F
	s_add_u32 m0, 0x200, s50                                   // 000000007998: 807C32FF 00000200
	v_mfma_f32_16x16x32_fp8_fp8 v[76:79], a[78:79], a[46:47], v[76:79]// 0000000079A0: D3F3004C 1D325D4E
	v_mfma_f32_16x16x32_fp8_fp8 v[64:67], a[64:65], a[48:49], v[64:67]// 0000000079A8: D3F30040 1D026140
	buffer_load_dword v48, s[20:23], 0 offen lds               // 0000000079B0: E0511000 80050030
	s_add_u32 m0, 0x300, s50                                   // 0000000079B8: 807C32FF 00000300
	v_mfma_f32_16x16x32_fp8_fp8 v[64:67], a[66:67], a[50:51], v[64:67]// 0000000079C0: D3F30040 1D026542
	v_mfma_f32_16x16x32_fp8_fp8 v[64:67], a[68:69], a[52:53], v[64:67]// 0000000079C8: D3F30040 1D026944
	buffer_load_dword v49, s[20:23], 0 offen lds               // 0000000079D0: E0511000 80050031
	s_add_u32 m0, 0x400, s50                                   // 0000000079D8: 807C32FF 00000400
	v_mfma_f32_16x16x32_fp8_fp8 v[64:67], a[70:71], a[54:55], v[64:67]// 0000000079E0: D3F30040 1D026D46
	v_mfma_f32_16x16x32_fp8_fp8 v[80:83], a[72:73], a[48:49], v[80:83]// 0000000079E8: D3F30050 1D426148
	buffer_load_dword v50, s[20:23], 0 offen lds               // 0000000079F0: E0511000 80050032
	s_add_u32 m0, 0x500, s50                                   // 0000000079F8: 807C32FF 00000500
	v_mfma_f32_16x16x32_fp8_fp8 v[80:83], a[74:75], a[50:51], v[80:83]// 000000007A00: D3F30050 1D42654A
	v_mfma_f32_16x16x32_fp8_fp8 v[80:83], a[76:77], a[52:53], v[80:83]// 000000007A08: D3F30050 1D42694C
	buffer_load_dword v51, s[20:23], 0 offen lds               // 000000007A10: E0511000 80050033
	s_add_u32 m0, 0x600, s50                                   // 000000007A18: 807C32FF 00000600
	v_mfma_f32_16x16x32_fp8_fp8 v[80:83], a[78:79], a[54:55], v[80:83]// 000000007A20: D3F30050 1D426D4E
	v_mfma_f32_16x16x32_fp8_fp8 v[68:71], a[64:65], a[56:57], v[68:71]// 000000007A28: D3F30044 1D127140
	buffer_load_dword v52, s[20:23], 0 offen lds               // 000000007A30: E0511000 80050034
	s_add_u32 m0, 0x700, s50                                   // 000000007A38: 807C32FF 00000700
	v_mfma_f32_16x16x32_fp8_fp8 v[68:71], a[66:67], a[58:59], v[68:71]// 000000007A40: D3F30044 1D127542
	v_mfma_f32_16x16x32_fp8_fp8 v[68:71], a[68:69], a[60:61], v[68:71]// 000000007A48: D3F30044 1D127944
	buffer_load_dword v53, s[20:23], 0 offen lds               // 000000007A50: E0511000 80050035
	s_add_u32 m0, 0, s48                                       // 000000007A58: 807C3080
	v_mfma_f32_16x16x32_fp8_fp8 v[68:71], a[70:71], a[62:63], v[68:71]// 000000007A5C: D3F30044 1D127D46
	v_mfma_f32_16x16x32_fp8_fp8 v[84:87], a[72:73], a[56:57], v[84:87]// 000000007A64: D3F30054 1D527148
	v_mfma_f32_16x16x32_fp8_fp8 v[84:87], a[74:75], a[58:59], v[84:87]// 000000007A6C: D3F30054 1D52754A
	v_mfma_f32_16x16x32_fp8_fp8 v[84:87], a[76:77], a[60:61], v[84:87]// 000000007A74: D3F30054 1D52794C
	v_mfma_f32_16x16x32_fp8_fp8 v[84:87], a[78:79], a[62:63], v[84:87]// 000000007A7C: D3F30054 1D527D4E
	s_waitcnt vmcnt(12)                                        // 000000007A84: BF8C0F7C
	s_barrier                                                  // 000000007A88: BF8A0000
	v_mfma_f32_16x16x32_fp8_fp8 v[88:91], a[80:81], a[32:33], v[88:91]// 000000007A8C: D3F30058 1D624150
	buffer_load_dwordx4 a[64:67], v54, s[84:87], 0 offen       // 000000007A94: E05C1000 80954036
	v_mfma_f32_16x16x32_fp8_fp8 v[88:91], a[82:83], a[34:35], v[88:91]// 000000007A9C: D3F30058 1D624552
	v_mfma_f32_16x16x32_fp8_fp8 v[88:91], a[84:85], a[36:37], v[88:91]// 000000007AA4: D3F30058 1D624954
	ds_read_b128 a[0:3], v2 offset:8320                        // 000000007AAC: DBFE2080 00000002
	ds_read_b128 a[4:7], v2 offset:8384                        // 000000007AB4: DBFE20C0 04000002
	v_mfma_f32_16x16x32_fp8_fp8 v[88:91], a[86:87], a[38:39], v[88:91]// 000000007ABC: D3F30058 1D624D56
	v_mfma_f32_16x16x32_fp8_fp8 v[104:107], a[88:89], a[32:33], v[104:107]// 000000007AC4: D3F30068 1DA24158
	buffer_load_dwordx4 a[68:71], v54, s[84:87], 0 offen offset:1024// 000000007ACC: E05C1400 80954436
	v_mfma_f32_16x16x32_fp8_fp8 v[104:107], a[90:91], a[34:35], v[104:107]// 000000007AD4: D3F30068 1DA2455A
	v_mfma_f32_16x16x32_fp8_fp8 v[104:107], a[92:93], a[36:37], v[104:107]// 000000007ADC: D3F30068 1DA2495C
	ds_read_b128 a[8:11], v2 offset:8832                       // 000000007AE4: DBFE2280 08000002
	ds_read_b128 a[12:15], v2 offset:8896                      // 000000007AEC: DBFE22C0 0C000002
	v_mfma_f32_16x16x32_fp8_fp8 v[104:107], a[94:95], a[38:39], v[104:107]// 000000007AF4: D3F30068 1DA24D5E
	v_mfma_f32_16x16x32_fp8_fp8 v[92:95], a[80:81], a[40:41], v[92:95]// 000000007AFC: D3F3005C 1D725150
	buffer_load_dwordx4 a[72:75], v55, s[84:87], 0 offen       // 000000007B04: E05C1000 80954837
	v_mfma_f32_16x16x32_fp8_fp8 v[92:95], a[82:83], a[42:43], v[92:95]// 000000007B0C: D3F3005C 1D725552
	v_mfma_f32_16x16x32_fp8_fp8 v[92:95], a[84:85], a[44:45], v[92:95]// 000000007B14: D3F3005C 1D725954
	ds_read_b128 a[16:19], v2 offset:9344                      // 000000007B1C: DBFE2480 10000002
	ds_read_b128 a[20:23], v2 offset:9408                      // 000000007B24: DBFE24C0 14000002
	v_mfma_f32_16x16x32_fp8_fp8 v[92:95], a[86:87], a[46:47], v[92:95]// 000000007B2C: D3F3005C 1D725D56
	v_mfma_f32_16x16x32_fp8_fp8 v[108:111], a[88:89], a[40:41], v[108:111]// 000000007B34: D3F3006C 1DB25158
	buffer_load_dwordx4 a[76:79], v55, s[84:87], 0 offen offset:1024// 000000007B3C: E05C1400 80954C37
	v_mfma_f32_16x16x32_fp8_fp8 v[108:111], a[90:91], a[42:43], v[108:111]// 000000007B44: D3F3006C 1DB2555A
	v_mfma_f32_16x16x32_fp8_fp8 v[108:111], a[92:93], a[44:45], v[108:111]// 000000007B4C: D3F3006C 1DB2595C
	ds_read_b128 a[24:27], v2 offset:9856                      // 000000007B54: DBFE2680 18000002
	ds_read_b128 a[28:31], v2 offset:9920                      // 000000007B5C: DBFE26C0 1C000002
	v_mfma_f32_16x16x32_fp8_fp8 v[108:111], a[94:95], a[46:47], v[108:111]// 000000007B64: D3F3006C 1DB25D5E
	v_mfma_f32_16x16x32_fp8_fp8 v[96:99], a[80:81], a[48:49], v[96:99]// 000000007B6C: D3F30060 1D826150
	v_mfma_f32_16x16x32_fp8_fp8 v[96:99], a[82:83], a[50:51], v[96:99]// 000000007B74: D3F30060 1D826552
	v_mfma_f32_16x16x32_fp8_fp8 v[96:99], a[84:85], a[52:53], v[96:99]// 000000007B7C: D3F30060 1D826954
	v_mfma_f32_16x16x32_fp8_fp8 v[96:99], a[86:87], a[54:55], v[96:99]// 000000007B84: D3F30060 1D826D56
	v_mfma_f32_16x16x32_fp8_fp8 v[112:115], a[88:89], a[48:49], v[112:115]// 000000007B8C: D3F30070 1DC26158
	v_mfma_f32_16x16x32_fp8_fp8 v[112:115], a[90:91], a[50:51], v[112:115]// 000000007B94: D3F30070 1DC2655A
	v_mfma_f32_16x16x32_fp8_fp8 v[112:115], a[92:93], a[52:53], v[112:115]// 000000007B9C: D3F30070 1DC2695C
	v_mfma_f32_16x16x32_fp8_fp8 v[112:115], a[94:95], a[54:55], v[112:115]// 000000007BA4: D3F30070 1DC26D5E
	v_mfma_f32_16x16x32_fp8_fp8 v[100:103], a[80:81], a[56:57], v[100:103]// 000000007BAC: D3F30064 1D927150
	s_add_u32 s60, 0x180, s80                                  // 000000007BB4: 803C50FF 00000180
	s_cmp_lt_u32 s60, s81                                      // 000000007BBC: BF0A513C
	s_cselect_b32 s57, s57, 0                                  // 000000007BC0: 85398039
	v_mfma_f32_16x16x32_fp8_fp8 v[100:103], a[82:83], a[58:59], v[100:103]// 000000007BC4: D3F30064 1D927552
	s_add_u32 s60, 0x100, s80                                  // 000000007BCC: 803C50FF 00000100
	s_cmp_lt_u32 s60, s81                                      // 000000007BD4: BF0A513C
	s_cselect_b32 s58, s58, 0                                  // 000000007BD8: 853A803A
	v_mfma_f32_16x16x32_fp8_fp8 v[100:103], a[84:85], a[60:61], v[100:103]// 000000007BDC: D3F30064 1D927954
	s_add_u32 s60, 0x100, s80                                  // 000000007BE4: 803C50FF 00000100
	s_cmp_lt_u32 s60, s81                                      // 000000007BEC: BF0A513C
	s_cselect_b32 s83, s83, 0                                  // 000000007BF0: 85538053
	v_mfma_f32_16x16x32_fp8_fp8 v[100:103], a[86:87], a[62:63], v[100:103]// 000000007BF4: D3F30064 1D927D56
	s_add_u32 s24, s58, s24                                    // 000000007BFC: 8018183A
	s_addc_u32 s25, 0, s25                                     // 000000007C00: 82191980
	v_mfma_f32_16x16x32_fp8_fp8 v[116:119], a[88:89], a[56:57], v[116:119]// 000000007C04: D3F30074 1DD27158
	s_add_u32 s20, s57, s20                                    // 000000007C0C: 80141439
	s_addc_u32 s21, 0, s21                                     // 000000007C10: 82151580
	v_mfma_f32_16x16x32_fp8_fp8 v[116:119], a[90:91], a[58:59], v[116:119]// 000000007C14: D3F30074 1DD2755A
	s_add_u32 s84, s83, s84                                    // 000000007C1C: 80545453
	s_addc_u32 s85, 0, s85                                     // 000000007C20: 82555580
	v_mfma_f32_16x16x32_fp8_fp8 v[116:119], a[92:93], a[60:61], v[116:119]// 000000007C24: D3F30074 1DD2795C
	v_mfma_f32_16x16x32_fp8_fp8 v[116:119], a[94:95], a[62:63], v[116:119]// 000000007C2C: D3F30074 1DD27D5E
	s_addk_i32 s80, 0x80                                       // 000000007C34: B7500080
	s_cmp_lt_i32 s80, s81                                      // 000000007C38: BF045150
	s_cbranch_scc0 label_1642                                  // 000000007C3C: BF8401AF
	s_waitcnt vmcnt(12) lgkmcnt(0)                             // 000000007C40: BF8C007C
	v_mfma_f32_16x16x32_fp8_fp8 v[56:59], a[96:97], a[0:1], v[56:59]// 000000007C44: D3F30038 1CE20160
	buffer_load_dwordx4 a[80:83], v54, s[24:27], 0 offen       // 000000007C4C: E05C1000 80865036
	v_mfma_f32_16x16x32_fp8_fp8 v[56:59], a[98:99], a[2:3], v[56:59]// 000000007C54: D3F30038 1CE20562
	v_mfma_f32_16x16x32_fp8_fp8 v[56:59], a[100:101], a[4:5], v[56:59]// 000000007C5C: D3F30038 1CE20964
	v_mfma_f32_16x16x32_fp8_fp8 v[56:59], a[102:103], a[6:7], v[56:59]// 000000007C64: D3F30038 1CE20D66
	v_mfma_f32_16x16x32_fp8_fp8 v[72:75], a[104:105], a[0:1], v[72:75]// 000000007C6C: D3F30048 1D220168
	buffer_load_dwordx4 a[84:87], v54, s[24:27], 0 offen offset:1024// 000000007C74: E05C1400 80865436
	v_mfma_f32_16x16x32_fp8_fp8 v[72:75], a[106:107], a[2:3], v[72:75]// 000000007C7C: D3F30048 1D22056A
	v_mfma_f32_16x16x32_fp8_fp8 v[72:75], a[108:109], a[4:5], v[72:75]// 000000007C84: D3F30048 1D22096C
	v_mfma_f32_16x16x32_fp8_fp8 v[72:75], a[110:111], a[6:7], v[72:75]// 000000007C8C: D3F30048 1D220D6E
	v_mfma_f32_16x16x32_fp8_fp8 v[60:63], a[96:97], a[8:9], v[60:63]// 000000007C94: D3F3003C 1CF21160
	buffer_load_dwordx4 a[88:91], v55, s[24:27], 0 offen       // 000000007C9C: E05C1000 80865837
	v_mfma_f32_16x16x32_fp8_fp8 v[60:63], a[98:99], a[10:11], v[60:63]// 000000007CA4: D3F3003C 1CF21562
	v_mfma_f32_16x16x32_fp8_fp8 v[60:63], a[100:101], a[12:13], v[60:63]// 000000007CAC: D3F3003C 1CF21964
	v_mfma_f32_16x16x32_fp8_fp8 v[60:63], a[102:103], a[14:15], v[60:63]// 000000007CB4: D3F3003C 1CF21D66
	v_mfma_f32_16x16x32_fp8_fp8 v[76:79], a[104:105], a[8:9], v[76:79]// 000000007CBC: D3F3004C 1D321168
	buffer_load_dwordx4 a[92:95], v55, s[24:27], 0 offen offset:1024// 000000007CC4: E05C1400 80865C37
	buffer_load_dword v46, s[20:23], 0 offen lds               // 000000007CCC: E0511000 8005002E
	s_add_u32 m0, 0x100, s48                                   // 000000007CD4: 807C30FF 00000100
	v_mfma_f32_16x16x32_fp8_fp8 v[76:79], a[106:107], a[10:11], v[76:79]// 000000007CDC: D3F3004C 1D32156A
	v_mfma_f32_16x16x32_fp8_fp8 v[76:79], a[108:109], a[12:13], v[76:79]// 000000007CE4: D3F3004C 1D32196C
	buffer_load_dword v47, s[20:23], 0 offen lds               // 000000007CEC: E0511000 8005002F
	s_add_u32 m0, 0x200, s48                                   // 000000007CF4: 807C30FF 00000200
	v_mfma_f32_16x16x32_fp8_fp8 v[76:79], a[110:111], a[14:15], v[76:79]// 000000007CFC: D3F3004C 1D321D6E
	v_mfma_f32_16x16x32_fp8_fp8 v[64:67], a[96:97], a[16:17], v[64:67]// 000000007D04: D3F30040 1D022160
	buffer_load_dword v48, s[20:23], 0 offen lds               // 000000007D0C: E0511000 80050030
	s_add_u32 m0, 0x300, s48                                   // 000000007D14: 807C30FF 00000300
	v_mfma_f32_16x16x32_fp8_fp8 v[64:67], a[98:99], a[18:19], v[64:67]// 000000007D1C: D3F30040 1D022562
	v_mfma_f32_16x16x32_fp8_fp8 v[64:67], a[100:101], a[20:21], v[64:67]// 000000007D24: D3F30040 1D022964
	buffer_load_dword v49, s[20:23], 0 offen lds               // 000000007D2C: E0511000 80050031
	s_add_u32 m0, 0x400, s48                                   // 000000007D34: 807C30FF 00000400
	v_mfma_f32_16x16x32_fp8_fp8 v[64:67], a[102:103], a[22:23], v[64:67]// 000000007D3C: D3F30040 1D022D66
	v_mfma_f32_16x16x32_fp8_fp8 v[80:83], a[104:105], a[16:17], v[80:83]// 000000007D44: D3F30050 1D422168
	buffer_load_dword v50, s[20:23], 0 offen lds               // 000000007D4C: E0511000 80050032
	s_add_u32 m0, 0x500, s48                                   // 000000007D54: 807C30FF 00000500
	v_mfma_f32_16x16x32_fp8_fp8 v[80:83], a[106:107], a[18:19], v[80:83]// 000000007D5C: D3F30050 1D42256A
	v_mfma_f32_16x16x32_fp8_fp8 v[80:83], a[108:109], a[20:21], v[80:83]// 000000007D64: D3F30050 1D42296C
	buffer_load_dword v51, s[20:23], 0 offen lds               // 000000007D6C: E0511000 80050033
	s_add_u32 m0, 0x600, s48                                   // 000000007D74: 807C30FF 00000600
	v_mfma_f32_16x16x32_fp8_fp8 v[80:83], a[110:111], a[22:23], v[80:83]// 000000007D7C: D3F30050 1D422D6E
	v_mfma_f32_16x16x32_fp8_fp8 v[68:71], a[96:97], a[24:25], v[68:71]// 000000007D84: D3F30044 1D123160
	buffer_load_dword v52, s[20:23], 0 offen lds               // 000000007D8C: E0511000 80050034
	s_add_u32 m0, 0x700, s48                                   // 000000007D94: 807C30FF 00000700
	v_mfma_f32_16x16x32_fp8_fp8 v[68:71], a[98:99], a[26:27], v[68:71]// 000000007D9C: D3F30044 1D123562
	v_mfma_f32_16x16x32_fp8_fp8 v[68:71], a[100:101], a[28:29], v[68:71]// 000000007DA4: D3F30044 1D123964
	buffer_load_dword v53, s[20:23], 0 offen lds               // 000000007DAC: E0511000 80050035
	s_add_u32 m0, 0, s49                                       // 000000007DB4: 807C3180
	v_mfma_f32_16x16x32_fp8_fp8 v[68:71], a[102:103], a[30:31], v[68:71]// 000000007DB8: D3F30044 1D123D66
	v_mfma_f32_16x16x32_fp8_fp8 v[84:87], a[104:105], a[24:25], v[84:87]// 000000007DC0: D3F30054 1D523168
	v_mfma_f32_16x16x32_fp8_fp8 v[84:87], a[106:107], a[26:27], v[84:87]// 000000007DC8: D3F30054 1D52356A
	v_mfma_f32_16x16x32_fp8_fp8 v[84:87], a[108:109], a[28:29], v[84:87]// 000000007DD0: D3F30054 1D52396C
	v_mfma_f32_16x16x32_fp8_fp8 v[84:87], a[110:111], a[30:31], v[84:87]// 000000007DD8: D3F30054 1D523D6E
	s_waitcnt vmcnt(12)                                        // 000000007DE0: BF8C0F7C
	s_barrier                                                  // 000000007DE4: BF8A0000
	v_mfma_f32_16x16x32_fp8_fp8 v[88:91], a[64:65], a[0:1], v[88:91]// 000000007DE8: D3F30058 1D620140
	buffer_load_dwordx4 a[96:99], v54, s[84:87], 0 offen       // 000000007DF0: E05C1000 80956036
	v_mfma_f32_16x16x32_fp8_fp8 v[88:91], a[66:67], a[2:3], v[88:91]// 000000007DF8: D3F30058 1D620542
	v_mfma_f32_16x16x32_fp8_fp8 v[88:91], a[68:69], a[4:5], v[88:91]// 000000007E00: D3F30058 1D620944
	ds_read_b128 a[32:35], v2 offset:16640                     // 000000007E08: DBFE4100 20000002
	ds_read_b128 a[36:39], v2 offset:16704                     // 000000007E10: DBFE4140 24000002
	v_mfma_f32_16x16x32_fp8_fp8 v[88:91], a[70:71], a[6:7], v[88:91]// 000000007E18: D3F30058 1D620D46
	v_mfma_f32_16x16x32_fp8_fp8 v[104:107], a[72:73], a[0:1], v[104:107]// 000000007E20: D3F30068 1DA20148
	buffer_load_dwordx4 a[100:103], v54, s[84:87], 0 offen offset:1024// 000000007E28: E05C1400 80956436
	v_mfma_f32_16x16x32_fp8_fp8 v[104:107], a[74:75], a[2:3], v[104:107]// 000000007E30: D3F30068 1DA2054A
	v_mfma_f32_16x16x32_fp8_fp8 v[104:107], a[76:77], a[4:5], v[104:107]// 000000007E38: D3F30068 1DA2094C
	ds_read_b128 a[40:43], v2 offset:17152                     // 000000007E40: DBFE4300 28000002
	ds_read_b128 a[44:47], v2 offset:17216                     // 000000007E48: DBFE4340 2C000002
	v_mfma_f32_16x16x32_fp8_fp8 v[104:107], a[78:79], a[6:7], v[104:107]// 000000007E50: D3F30068 1DA20D4E
	v_mfma_f32_16x16x32_fp8_fp8 v[92:95], a[64:65], a[8:9], v[92:95]// 000000007E58: D3F3005C 1D721140
	buffer_load_dwordx4 a[104:107], v55, s[84:87], 0 offen     // 000000007E60: E05C1000 80956837
	v_mfma_f32_16x16x32_fp8_fp8 v[92:95], a[66:67], a[10:11], v[92:95]// 000000007E68: D3F3005C 1D721542
	v_mfma_f32_16x16x32_fp8_fp8 v[92:95], a[68:69], a[12:13], v[92:95]// 000000007E70: D3F3005C 1D721944
	ds_read_b128 a[48:51], v2 offset:17664                     // 000000007E78: DBFE4500 30000002
	ds_read_b128 a[52:55], v2 offset:17728                     // 000000007E80: DBFE4540 34000002
	v_mfma_f32_16x16x32_fp8_fp8 v[92:95], a[70:71], a[14:15], v[92:95]// 000000007E88: D3F3005C 1D721D46
	v_mfma_f32_16x16x32_fp8_fp8 v[108:111], a[72:73], a[8:9], v[108:111]// 000000007E90: D3F3006C 1DB21148
	buffer_load_dwordx4 a[108:111], v55, s[84:87], 0 offen offset:1024// 000000007E98: E05C1400 80956C37
	v_mfma_f32_16x16x32_fp8_fp8 v[108:111], a[74:75], a[10:11], v[108:111]// 000000007EA0: D3F3006C 1DB2154A
	v_mfma_f32_16x16x32_fp8_fp8 v[108:111], a[76:77], a[12:13], v[108:111]// 000000007EA8: D3F3006C 1DB2194C
	ds_read_b128 a[56:59], v2 offset:18176                     // 000000007EB0: DBFE4700 38000002
	ds_read_b128 a[60:63], v2 offset:18240                     // 000000007EB8: DBFE4740 3C000002
	v_mfma_f32_16x16x32_fp8_fp8 v[108:111], a[78:79], a[14:15], v[108:111]// 000000007EC0: D3F3006C 1DB21D4E
	v_mfma_f32_16x16x32_fp8_fp8 v[96:99], a[64:65], a[16:17], v[96:99]// 000000007EC8: D3F30060 1D822140
	v_mfma_f32_16x16x32_fp8_fp8 v[96:99], a[66:67], a[18:19], v[96:99]// 000000007ED0: D3F30060 1D822542
	v_mfma_f32_16x16x32_fp8_fp8 v[96:99], a[68:69], a[20:21], v[96:99]// 000000007ED8: D3F30060 1D822944
	v_mfma_f32_16x16x32_fp8_fp8 v[96:99], a[70:71], a[22:23], v[96:99]// 000000007EE0: D3F30060 1D822D46
	v_mfma_f32_16x16x32_fp8_fp8 v[112:115], a[72:73], a[16:17], v[112:115]// 000000007EE8: D3F30070 1DC22148
	v_mfma_f32_16x16x32_fp8_fp8 v[112:115], a[74:75], a[18:19], v[112:115]// 000000007EF0: D3F30070 1DC2254A
	v_mfma_f32_16x16x32_fp8_fp8 v[112:115], a[76:77], a[20:21], v[112:115]// 000000007EF8: D3F30070 1DC2294C
	v_mfma_f32_16x16x32_fp8_fp8 v[112:115], a[78:79], a[22:23], v[112:115]// 000000007F00: D3F30070 1DC22D4E
	v_mfma_f32_16x16x32_fp8_fp8 v[100:103], a[64:65], a[24:25], v[100:103]// 000000007F08: D3F30064 1D923140
	s_add_u32 s60, 0x180, s80                                  // 000000007F10: 803C50FF 00000180
	s_cmp_lt_u32 s60, s81                                      // 000000007F18: BF0A513C
	s_cselect_b32 s57, s57, 0                                  // 000000007F1C: 85398039
	v_mfma_f32_16x16x32_fp8_fp8 v[100:103], a[66:67], a[26:27], v[100:103]// 000000007F20: D3F30064 1D923542
	s_add_u32 s60, 0x100, s80                                  // 000000007F28: 803C50FF 00000100
	s_cmp_lt_u32 s60, s81                                      // 000000007F30: BF0A513C
	s_cselect_b32 s58, s58, 0                                  // 000000007F34: 853A803A
	v_mfma_f32_16x16x32_fp8_fp8 v[100:103], a[68:69], a[28:29], v[100:103]// 000000007F38: D3F30064 1D923944
	s_add_u32 s60, 0x100, s80                                  // 000000007F40: 803C50FF 00000100
	s_cmp_lt_u32 s60, s81                                      // 000000007F48: BF0A513C
	s_cselect_b32 s83, s83, 0                                  // 000000007F4C: 85538053
	v_mfma_f32_16x16x32_fp8_fp8 v[100:103], a[70:71], a[30:31], v[100:103]// 000000007F50: D3F30064 1D923D46
	s_add_u32 s24, s58, s24                                    // 000000007F58: 8018183A
	s_addc_u32 s25, 0, s25                                     // 000000007F5C: 82191980
	v_mfma_f32_16x16x32_fp8_fp8 v[116:119], a[72:73], a[24:25], v[116:119]// 000000007F60: D3F30074 1DD23148
	s_add_u32 s20, s57, s20                                    // 000000007F68: 80141439
	s_addc_u32 s21, 0, s21                                     // 000000007F6C: 82151580
	v_mfma_f32_16x16x32_fp8_fp8 v[116:119], a[74:75], a[26:27], v[116:119]// 000000007F70: D3F30074 1DD2354A
	s_add_u32 s84, s83, s84                                    // 000000007F78: 80545453
	s_addc_u32 s85, 0, s85                                     // 000000007F7C: 82555580
	v_mfma_f32_16x16x32_fp8_fp8 v[116:119], a[76:77], a[28:29], v[116:119]// 000000007F80: D3F30074 1DD2394C
	v_mfma_f32_16x16x32_fp8_fp8 v[116:119], a[78:79], a[30:31], v[116:119]// 000000007F88: D3F30074 1DD23D4E
	s_addk_i32 s80, 0x80                                       // 000000007F90: B7500080
	s_cmp_lt_i32 s80, s81                                      // 000000007F94: BF045150
	s_cbranch_scc0 label_1642                                  // 000000007F98: BF8400D8
	s_waitcnt vmcnt(12) lgkmcnt(0)                             // 000000007F9C: BF8C007C
	v_mfma_f32_16x16x32_fp8_fp8 v[56:59], a[80:81], a[32:33], v[56:59]// 000000007FA0: D3F30038 1CE24150
	buffer_load_dwordx4 a[64:67], v54, s[24:27], 0 offen       // 000000007FA8: E05C1000 80864036
	v_mfma_f32_16x16x32_fp8_fp8 v[56:59], a[82:83], a[34:35], v[56:59]// 000000007FB0: D3F30038 1CE24552
	v_mfma_f32_16x16x32_fp8_fp8 v[56:59], a[84:85], a[36:37], v[56:59]// 000000007FB8: D3F30038 1CE24954
	v_mfma_f32_16x16x32_fp8_fp8 v[56:59], a[86:87], a[38:39], v[56:59]// 000000007FC0: D3F30038 1CE24D56
	v_mfma_f32_16x16x32_fp8_fp8 v[72:75], a[88:89], a[32:33], v[72:75]// 000000007FC8: D3F30048 1D224158
	buffer_load_dwordx4 a[68:71], v54, s[24:27], 0 offen offset:1024// 000000007FD0: E05C1400 80864436
	v_mfma_f32_16x16x32_fp8_fp8 v[72:75], a[90:91], a[34:35], v[72:75]// 000000007FD8: D3F30048 1D22455A
	v_mfma_f32_16x16x32_fp8_fp8 v[72:75], a[92:93], a[36:37], v[72:75]// 000000007FE0: D3F30048 1D22495C
	v_mfma_f32_16x16x32_fp8_fp8 v[72:75], a[94:95], a[38:39], v[72:75]// 000000007FE8: D3F30048 1D224D5E
	v_mfma_f32_16x16x32_fp8_fp8 v[60:63], a[80:81], a[40:41], v[60:63]// 000000007FF0: D3F3003C 1CF25150
	buffer_load_dwordx4 a[72:75], v55, s[24:27], 0 offen       // 000000007FF8: E05C1000 80864837
	v_mfma_f32_16x16x32_fp8_fp8 v[60:63], a[82:83], a[42:43], v[60:63]// 000000008000: D3F3003C 1CF25552
	v_mfma_f32_16x16x32_fp8_fp8 v[60:63], a[84:85], a[44:45], v[60:63]// 000000008008: D3F3003C 1CF25954
	v_mfma_f32_16x16x32_fp8_fp8 v[60:63], a[86:87], a[46:47], v[60:63]// 000000008010: D3F3003C 1CF25D56
	v_mfma_f32_16x16x32_fp8_fp8 v[76:79], a[88:89], a[40:41], v[76:79]// 000000008018: D3F3004C 1D325158
	buffer_load_dwordx4 a[76:79], v55, s[24:27], 0 offen offset:1024// 000000008020: E05C1400 80864C37
	buffer_load_dword v46, s[20:23], 0 offen lds               // 000000008028: E0511000 8005002E
	s_add_u32 m0, 0x100, s49                                   // 000000008030: 807C31FF 00000100
	v_mfma_f32_16x16x32_fp8_fp8 v[76:79], a[90:91], a[42:43], v[76:79]// 000000008038: D3F3004C 1D32555A
	v_mfma_f32_16x16x32_fp8_fp8 v[76:79], a[92:93], a[44:45], v[76:79]// 000000008040: D3F3004C 1D32595C
	buffer_load_dword v47, s[20:23], 0 offen lds               // 000000008048: E0511000 8005002F
	s_add_u32 m0, 0x200, s49                                   // 000000008050: 807C31FF 00000200
	v_mfma_f32_16x16x32_fp8_fp8 v[76:79], a[94:95], a[46:47], v[76:79]// 000000008058: D3F3004C 1D325D5E
	v_mfma_f32_16x16x32_fp8_fp8 v[64:67], a[80:81], a[48:49], v[64:67]// 000000008060: D3F30040 1D026150
	buffer_load_dword v48, s[20:23], 0 offen lds               // 000000008068: E0511000 80050030
	s_add_u32 m0, 0x300, s49                                   // 000000008070: 807C31FF 00000300
	v_mfma_f32_16x16x32_fp8_fp8 v[64:67], a[82:83], a[50:51], v[64:67]// 000000008078: D3F30040 1D026552
	v_mfma_f32_16x16x32_fp8_fp8 v[64:67], a[84:85], a[52:53], v[64:67]// 000000008080: D3F30040 1D026954
	buffer_load_dword v49, s[20:23], 0 offen lds               // 000000008088: E0511000 80050031
	s_add_u32 m0, 0x400, s49                                   // 000000008090: 807C31FF 00000400
	v_mfma_f32_16x16x32_fp8_fp8 v[64:67], a[86:87], a[54:55], v[64:67]// 000000008098: D3F30040 1D026D56
	v_mfma_f32_16x16x32_fp8_fp8 v[80:83], a[88:89], a[48:49], v[80:83]// 0000000080A0: D3F30050 1D426158
	buffer_load_dword v50, s[20:23], 0 offen lds               // 0000000080A8: E0511000 80050032
	s_add_u32 m0, 0x500, s49                                   // 0000000080B0: 807C31FF 00000500
	v_mfma_f32_16x16x32_fp8_fp8 v[80:83], a[90:91], a[50:51], v[80:83]// 0000000080B8: D3F30050 1D42655A
	v_mfma_f32_16x16x32_fp8_fp8 v[80:83], a[92:93], a[52:53], v[80:83]// 0000000080C0: D3F30050 1D42695C
	buffer_load_dword v51, s[20:23], 0 offen lds               // 0000000080C8: E0511000 80050033
	s_add_u32 m0, 0x600, s49                                   // 0000000080D0: 807C31FF 00000600
	v_mfma_f32_16x16x32_fp8_fp8 v[80:83], a[94:95], a[54:55], v[80:83]// 0000000080D8: D3F30050 1D426D5E
	v_mfma_f32_16x16x32_fp8_fp8 v[68:71], a[80:81], a[56:57], v[68:71]// 0000000080E0: D3F30044 1D127150
	buffer_load_dword v52, s[20:23], 0 offen lds               // 0000000080E8: E0511000 80050034
	s_add_u32 m0, 0x700, s49                                   // 0000000080F0: 807C31FF 00000700
	v_mfma_f32_16x16x32_fp8_fp8 v[68:71], a[82:83], a[58:59], v[68:71]// 0000000080F8: D3F30044 1D127552
	v_mfma_f32_16x16x32_fp8_fp8 v[68:71], a[84:85], a[60:61], v[68:71]// 000000008100: D3F30044 1D127954
	buffer_load_dword v53, s[20:23], 0 offen lds               // 000000008108: E0511000 80050035
	s_add_u32 m0, 0, s50                                       // 000000008110: 807C3280
	v_mfma_f32_16x16x32_fp8_fp8 v[68:71], a[86:87], a[62:63], v[68:71]// 000000008114: D3F30044 1D127D56
	v_mfma_f32_16x16x32_fp8_fp8 v[84:87], a[88:89], a[56:57], v[84:87]// 00000000811C: D3F30054 1D527158
	v_mfma_f32_16x16x32_fp8_fp8 v[84:87], a[90:91], a[58:59], v[84:87]// 000000008124: D3F30054 1D52755A
	v_mfma_f32_16x16x32_fp8_fp8 v[84:87], a[92:93], a[60:61], v[84:87]// 00000000812C: D3F30054 1D52795C
	v_mfma_f32_16x16x32_fp8_fp8 v[84:87], a[94:95], a[62:63], v[84:87]// 000000008134: D3F30054 1D527D5E
	s_waitcnt vmcnt(12)                                        // 00000000813C: BF8C0F7C
	s_barrier                                                  // 000000008140: BF8A0000
	v_mfma_f32_16x16x32_fp8_fp8 v[88:91], a[96:97], a[32:33], v[88:91]// 000000008144: D3F30058 1D624160
	buffer_load_dwordx4 a[80:83], v54, s[84:87], 0 offen       // 00000000814C: E05C1000 80955036
	v_mfma_f32_16x16x32_fp8_fp8 v[88:91], a[98:99], a[34:35], v[88:91]// 000000008154: D3F30058 1D624562
	v_mfma_f32_16x16x32_fp8_fp8 v[88:91], a[100:101], a[36:37], v[88:91]// 00000000815C: D3F30058 1D624964
	ds_read_b128 a[0:3], v2                                    // 000000008164: DBFE0000 00000002
	ds_read_b128 a[4:7], v2 offset:64                          // 00000000816C: DBFE0040 04000002
	v_mfma_f32_16x16x32_fp8_fp8 v[88:91], a[102:103], a[38:39], v[88:91]// 000000008174: D3F30058 1D624D66
	v_mfma_f32_16x16x32_fp8_fp8 v[104:107], a[104:105], a[32:33], v[104:107]// 00000000817C: D3F30068 1DA24168
	buffer_load_dwordx4 a[84:87], v54, s[84:87], 0 offen offset:1024// 000000008184: E05C1400 80955436
	v_mfma_f32_16x16x32_fp8_fp8 v[104:107], a[106:107], a[34:35], v[104:107]// 00000000818C: D3F30068 1DA2456A
	v_mfma_f32_16x16x32_fp8_fp8 v[104:107], a[108:109], a[36:37], v[104:107]// 000000008194: D3F30068 1DA2496C
	ds_read_b128 a[8:11], v2 offset:512                        // 00000000819C: DBFE0200 08000002
	ds_read_b128 a[12:15], v2 offset:576                       // 0000000081A4: DBFE0240 0C000002
	v_mfma_f32_16x16x32_fp8_fp8 v[104:107], a[110:111], a[38:39], v[104:107]// 0000000081AC: D3F30068 1DA24D6E
	v_mfma_f32_16x16x32_fp8_fp8 v[92:95], a[96:97], a[40:41], v[92:95]// 0000000081B4: D3F3005C 1D725160
	buffer_load_dwordx4 a[88:91], v55, s[84:87], 0 offen       // 0000000081BC: E05C1000 80955837
	v_mfma_f32_16x16x32_fp8_fp8 v[92:95], a[98:99], a[42:43], v[92:95]// 0000000081C4: D3F3005C 1D725562
	v_mfma_f32_16x16x32_fp8_fp8 v[92:95], a[100:101], a[44:45], v[92:95]// 0000000081CC: D3F3005C 1D725964
	ds_read_b128 a[16:19], v2 offset:1024                      // 0000000081D4: DBFE0400 10000002
	ds_read_b128 a[20:23], v2 offset:1088                      // 0000000081DC: DBFE0440 14000002
	v_mfma_f32_16x16x32_fp8_fp8 v[92:95], a[102:103], a[46:47], v[92:95]// 0000000081E4: D3F3005C 1D725D66
	v_mfma_f32_16x16x32_fp8_fp8 v[108:111], a[104:105], a[40:41], v[108:111]// 0000000081EC: D3F3006C 1DB25168
	buffer_load_dwordx4 a[92:95], v55, s[84:87], 0 offen offset:1024// 0000000081F4: E05C1400 80955C37
	v_mfma_f32_16x16x32_fp8_fp8 v[108:111], a[106:107], a[42:43], v[108:111]// 0000000081FC: D3F3006C 1DB2556A
	v_mfma_f32_16x16x32_fp8_fp8 v[108:111], a[108:109], a[44:45], v[108:111]// 000000008204: D3F3006C 1DB2596C
	ds_read_b128 a[24:27], v2 offset:1536                      // 00000000820C: DBFE0600 18000002
	ds_read_b128 a[28:31], v2 offset:1600                      // 000000008214: DBFE0640 1C000002
	v_mfma_f32_16x16x32_fp8_fp8 v[108:111], a[110:111], a[46:47], v[108:111]// 00000000821C: D3F3006C 1DB25D6E
	v_mfma_f32_16x16x32_fp8_fp8 v[96:99], a[96:97], a[48:49], v[96:99]// 000000008224: D3F30060 1D826160
	v_mfma_f32_16x16x32_fp8_fp8 v[96:99], a[98:99], a[50:51], v[96:99]// 00000000822C: D3F30060 1D826562
	v_mfma_f32_16x16x32_fp8_fp8 v[96:99], a[100:101], a[52:53], v[96:99]// 000000008234: D3F30060 1D826964
	v_mfma_f32_16x16x32_fp8_fp8 v[96:99], a[102:103], a[54:55], v[96:99]// 00000000823C: D3F30060 1D826D66
	v_mfma_f32_16x16x32_fp8_fp8 v[112:115], a[104:105], a[48:49], v[112:115]// 000000008244: D3F30070 1DC26168
	v_mfma_f32_16x16x32_fp8_fp8 v[112:115], a[106:107], a[50:51], v[112:115]// 00000000824C: D3F30070 1DC2656A
	v_mfma_f32_16x16x32_fp8_fp8 v[112:115], a[108:109], a[52:53], v[112:115]// 000000008254: D3F30070 1DC2696C
	v_mfma_f32_16x16x32_fp8_fp8 v[112:115], a[110:111], a[54:55], v[112:115]// 00000000825C: D3F30070 1DC26D6E
	v_mfma_f32_16x16x32_fp8_fp8 v[100:103], a[96:97], a[56:57], v[100:103]// 000000008264: D3F30064 1D927160
	s_add_u32 s60, 0x180, s80                                  // 00000000826C: 803C50FF 00000180
	s_cmp_lt_u32 s60, s81                                      // 000000008274: BF0A513C
	s_cselect_b32 s57, s57, 0                                  // 000000008278: 85398039
	v_mfma_f32_16x16x32_fp8_fp8 v[100:103], a[98:99], a[58:59], v[100:103]// 00000000827C: D3F30064 1D927562
	s_add_u32 s60, 0x100, s80                                  // 000000008284: 803C50FF 00000100
	s_cmp_lt_u32 s60, s81                                      // 00000000828C: BF0A513C
	s_cselect_b32 s58, s58, 0                                  // 000000008290: 853A803A
	v_mfma_f32_16x16x32_fp8_fp8 v[100:103], a[100:101], a[60:61], v[100:103]// 000000008294: D3F30064 1D927964
	s_add_u32 s60, 0x100, s80                                  // 00000000829C: 803C50FF 00000100
	s_cmp_lt_u32 s60, s81                                      // 0000000082A4: BF0A513C
	s_cselect_b32 s83, s83, 0                                  // 0000000082A8: 85538053
	v_mfma_f32_16x16x32_fp8_fp8 v[100:103], a[102:103], a[62:63], v[100:103]// 0000000082AC: D3F30064 1D927D66
	s_add_u32 s24, s58, s24                                    // 0000000082B4: 8018183A
	s_addc_u32 s25, 0, s25                                     // 0000000082B8: 82191980
	v_mfma_f32_16x16x32_fp8_fp8 v[116:119], a[104:105], a[56:57], v[116:119]// 0000000082BC: D3F30074 1DD27168
	s_add_u32 s20, s57, s20                                    // 0000000082C4: 80141439
	s_addc_u32 s21, 0, s21                                     // 0000000082C8: 82151580
	v_mfma_f32_16x16x32_fp8_fp8 v[116:119], a[106:107], a[58:59], v[116:119]// 0000000082CC: D3F30074 1DD2756A
	s_add_u32 s84, s83, s84                                    // 0000000082D4: 80545453
	s_addc_u32 s85, 0, s85                                     // 0000000082D8: 82555580
	v_mfma_f32_16x16x32_fp8_fp8 v[116:119], a[108:109], a[60:61], v[116:119]// 0000000082DC: D3F30074 1DD2796C
	v_mfma_f32_16x16x32_fp8_fp8 v[116:119], a[110:111], a[62:63], v[116:119]// 0000000082E4: D3F30074 1DD27D6E
	s_addk_i32 s80, 0x80                                       // 0000000082EC: B7500080
	s_cmp_lt_i32 s80, s81                                      // 0000000082F0: BF045150
	s_cbranch_scc0 label_1642                                  // 0000000082F4: BF840001
	s_branch label_1137                                        // 0000000082F8: BF82FAF5

00000000000082fc <label_1642>:
	v_mul_f32_dpp v56, v24, v56 row_newbcast:0 row_mask:0xf bank_mask:0xf// 0000000082FC: 0A7070FA FF015018
	v_mul_f32_dpp v57, v24, v57 row_newbcast:1 row_mask:0xf bank_mask:0xf// 000000008304: 0A7272FA FF015118
	v_mul_f32_dpp v58, v24, v58 row_newbcast:2 row_mask:0xf bank_mask:0xf// 00000000830C: 0A7474FA FF015218
	v_mul_f32_dpp v59, v24, v59 row_newbcast:3 row_mask:0xf bank_mask:0xf// 000000008314: 0A7676FA FF015318
	v_mul_f32_dpp v60, v24, v60 row_newbcast:0 row_mask:0xf bank_mask:0xf// 00000000831C: 0A7878FA FF015018
	v_mul_f32_dpp v61, v24, v61 row_newbcast:1 row_mask:0xf bank_mask:0xf// 000000008324: 0A7A7AFA FF015118
	v_mul_f32_dpp v62, v24, v62 row_newbcast:2 row_mask:0xf bank_mask:0xf// 00000000832C: 0A7C7CFA FF015218
	v_mul_f32_dpp v63, v24, v63 row_newbcast:3 row_mask:0xf bank_mask:0xf// 000000008334: 0A7E7EFA FF015318
	v_mul_f32_dpp v64, v24, v64 row_newbcast:0 row_mask:0xf bank_mask:0xf// 00000000833C: 0A8080FA FF015018
	v_mul_f32_dpp v65, v24, v65 row_newbcast:1 row_mask:0xf bank_mask:0xf// 000000008344: 0A8282FA FF015118
	v_mul_f32_dpp v66, v24, v66 row_newbcast:2 row_mask:0xf bank_mask:0xf// 00000000834C: 0A8484FA FF015218
	v_mul_f32_dpp v67, v24, v67 row_newbcast:3 row_mask:0xf bank_mask:0xf// 000000008354: 0A8686FA FF015318
	v_mul_f32_dpp v68, v24, v68 row_newbcast:0 row_mask:0xf bank_mask:0xf// 00000000835C: 0A8888FA FF015018
	v_mul_f32_dpp v69, v24, v69 row_newbcast:1 row_mask:0xf bank_mask:0xf// 000000008364: 0A8A8AFA FF015118
	v_mul_f32_dpp v70, v24, v70 row_newbcast:2 row_mask:0xf bank_mask:0xf// 00000000836C: 0A8C8CFA FF015218
	v_mul_f32_dpp v71, v24, v71 row_newbcast:3 row_mask:0xf bank_mask:0xf// 000000008374: 0A8E8EFA FF015318
	v_mul_f32_dpp v72, v24, v72 row_newbcast:4 row_mask:0xf bank_mask:0xf// 00000000837C: 0A9090FA FF015418
	v_mul_f32_dpp v73, v24, v73 row_newbcast:5 row_mask:0xf bank_mask:0xf// 000000008384: 0A9292FA FF015518
	v_mul_f32_dpp v74, v24, v74 row_newbcast:6 row_mask:0xf bank_mask:0xf// 00000000838C: 0A9494FA FF015618
	v_mul_f32_dpp v75, v24, v75 row_newbcast:7 row_mask:0xf bank_mask:0xf// 000000008394: 0A9696FA FF015718
	v_mul_f32_dpp v76, v24, v76 row_newbcast:4 row_mask:0xf bank_mask:0xf// 00000000839C: 0A9898FA FF015418
	v_mul_f32_dpp v77, v24, v77 row_newbcast:5 row_mask:0xf bank_mask:0xf// 0000000083A4: 0A9A9AFA FF015518
	v_mul_f32_dpp v78, v24, v78 row_newbcast:6 row_mask:0xf bank_mask:0xf// 0000000083AC: 0A9C9CFA FF015618
	v_mul_f32_dpp v79, v24, v79 row_newbcast:7 row_mask:0xf bank_mask:0xf// 0000000083B4: 0A9E9EFA FF015718
	v_mul_f32_dpp v80, v24, v80 row_newbcast:4 row_mask:0xf bank_mask:0xf// 0000000083BC: 0AA0A0FA FF015418
	v_mul_f32_dpp v81, v24, v81 row_newbcast:5 row_mask:0xf bank_mask:0xf// 0000000083C4: 0AA2A2FA FF015518
	v_mul_f32_dpp v82, v24, v82 row_newbcast:6 row_mask:0xf bank_mask:0xf// 0000000083CC: 0AA4A4FA FF015618
	v_mul_f32_dpp v83, v24, v83 row_newbcast:7 row_mask:0xf bank_mask:0xf// 0000000083D4: 0AA6A6FA FF015718
	v_mul_f32_dpp v84, v24, v84 row_newbcast:4 row_mask:0xf bank_mask:0xf// 0000000083DC: 0AA8A8FA FF015418
	v_mul_f32_dpp v85, v24, v85 row_newbcast:5 row_mask:0xf bank_mask:0xf// 0000000083E4: 0AAAAAFA FF015518
	v_mul_f32_dpp v86, v24, v86 row_newbcast:6 row_mask:0xf bank_mask:0xf// 0000000083EC: 0AACACFA FF015618
	v_mul_f32_dpp v87, v24, v87 row_newbcast:7 row_mask:0xf bank_mask:0xf// 0000000083F4: 0AAEAEFA FF015718
	v_mul_f32_dpp v88, v27, v88 row_newbcast:0 row_mask:0xf bank_mask:0xf// 0000000083FC: 0AB0B0FA FF01501B
	v_mul_f32_dpp v89, v27, v89 row_newbcast:1 row_mask:0xf bank_mask:0xf// 000000008404: 0AB2B2FA FF01511B
	v_mul_f32_dpp v90, v27, v90 row_newbcast:2 row_mask:0xf bank_mask:0xf// 00000000840C: 0AB4B4FA FF01521B
	v_mul_f32_dpp v91, v27, v91 row_newbcast:3 row_mask:0xf bank_mask:0xf// 000000008414: 0AB6B6FA FF01531B
	v_mul_f32_dpp v92, v27, v92 row_newbcast:0 row_mask:0xf bank_mask:0xf// 00000000841C: 0AB8B8FA FF01501B
	v_mul_f32_dpp v93, v27, v93 row_newbcast:1 row_mask:0xf bank_mask:0xf// 000000008424: 0ABABAFA FF01511B
	v_mul_f32_dpp v94, v27, v94 row_newbcast:2 row_mask:0xf bank_mask:0xf// 00000000842C: 0ABCBCFA FF01521B
	v_mul_f32_dpp v95, v27, v95 row_newbcast:3 row_mask:0xf bank_mask:0xf// 000000008434: 0ABEBEFA FF01531B
	v_mul_f32_dpp v96, v27, v96 row_newbcast:0 row_mask:0xf bank_mask:0xf// 00000000843C: 0AC0C0FA FF01501B
	v_mul_f32_dpp v97, v27, v97 row_newbcast:1 row_mask:0xf bank_mask:0xf// 000000008444: 0AC2C2FA FF01511B
	v_mul_f32_dpp v98, v27, v98 row_newbcast:2 row_mask:0xf bank_mask:0xf// 00000000844C: 0AC4C4FA FF01521B
	v_mul_f32_dpp v99, v27, v99 row_newbcast:3 row_mask:0xf bank_mask:0xf// 000000008454: 0AC6C6FA FF01531B
	v_mul_f32_dpp v100, v27, v100 row_newbcast:0 row_mask:0xf bank_mask:0xf// 00000000845C: 0AC8C8FA FF01501B
	v_mul_f32_dpp v101, v27, v101 row_newbcast:1 row_mask:0xf bank_mask:0xf// 000000008464: 0ACACAFA FF01511B
	v_mul_f32_dpp v102, v27, v102 row_newbcast:2 row_mask:0xf bank_mask:0xf// 00000000846C: 0ACCCCFA FF01521B
	v_mul_f32_dpp v103, v27, v103 row_newbcast:3 row_mask:0xf bank_mask:0xf// 000000008474: 0ACECEFA FF01531B
	v_mul_f32_dpp v104, v27, v104 row_newbcast:4 row_mask:0xf bank_mask:0xf// 00000000847C: 0AD0D0FA FF01541B
	v_mul_f32_dpp v105, v27, v105 row_newbcast:5 row_mask:0xf bank_mask:0xf// 000000008484: 0AD2D2FA FF01551B
	v_mul_f32_dpp v106, v27, v106 row_newbcast:6 row_mask:0xf bank_mask:0xf// 00000000848C: 0AD4D4FA FF01561B
	v_mul_f32_dpp v107, v27, v107 row_newbcast:7 row_mask:0xf bank_mask:0xf// 000000008494: 0AD6D6FA FF01571B
	v_mul_f32_dpp v108, v27, v108 row_newbcast:4 row_mask:0xf bank_mask:0xf// 00000000849C: 0AD8D8FA FF01541B
	v_mul_f32_dpp v109, v27, v109 row_newbcast:5 row_mask:0xf bank_mask:0xf// 0000000084A4: 0ADADAFA FF01551B
	v_mul_f32_dpp v110, v27, v110 row_newbcast:6 row_mask:0xf bank_mask:0xf// 0000000084AC: 0ADCDCFA FF01561B
	v_mul_f32_dpp v111, v27, v111 row_newbcast:7 row_mask:0xf bank_mask:0xf// 0000000084B4: 0ADEDEFA FF01571B
	v_mul_f32_dpp v112, v27, v112 row_newbcast:4 row_mask:0xf bank_mask:0xf// 0000000084BC: 0AE0E0FA FF01541B
	v_mul_f32_dpp v113, v27, v113 row_newbcast:5 row_mask:0xf bank_mask:0xf// 0000000084C4: 0AE2E2FA FF01551B
	v_mul_f32_dpp v114, v27, v114 row_newbcast:6 row_mask:0xf bank_mask:0xf// 0000000084CC: 0AE4E4FA FF01561B
	v_mul_f32_dpp v115, v27, v115 row_newbcast:7 row_mask:0xf bank_mask:0xf// 0000000084D4: 0AE6E6FA FF01571B
	v_mul_f32_dpp v116, v27, v116 row_newbcast:4 row_mask:0xf bank_mask:0xf// 0000000084DC: 0AE8E8FA FF01541B
	v_mul_f32_dpp v117, v27, v117 row_newbcast:5 row_mask:0xf bank_mask:0xf// 0000000084E4: 0AEAEAFA FF01551B
	v_mul_f32_dpp v118, v27, v118 row_newbcast:6 row_mask:0xf bank_mask:0xf// 0000000084EC: 0AECECFA FF01561B
	v_mul_f32_dpp v119, v27, v119 row_newbcast:7 row_mask:0xf bank_mask:0xf// 0000000084F4: 0AEEEEFA FF01571B
	v_mul_f32_e32 v34, v34, v120                               // 0000000084FC: 0A44F122
	v_mov_b32_e32 v4, v34                                      // 000000008500: 7E080322
	v_mov_b32_e32 v5, v4                                       // 000000008504: 7E0A0304
	v_pk_mul_f32 v[56:57], v[4:5], v[56:57]                    // 000000008508: D3B14038 18027104
	v_pk_mul_f32 v[88:89], v[4:5], v[88:89]                    // 000000008510: D3B14058 1802B104
	v_pk_mul_f32 v[58:59], v[4:5], v[58:59]                    // 000000008518: D3B1403A 18027504
	v_pk_mul_f32 v[90:91], v[4:5], v[90:91]                    // 000000008520: D3B1405A 1802B504
	v_pk_mul_f32 v[72:73], v[4:5], v[72:73]                    // 000000008528: D3B14048 18029104
	v_pk_mul_f32 v[104:105], v[4:5], v[104:105]                // 000000008530: D3B14068 1802D104
	v_pk_mul_f32 v[74:75], v[4:5], v[74:75]                    // 000000008538: D3B1404A 18029504
	v_pk_mul_f32 v[106:107], v[4:5], v[106:107]                // 000000008540: D3B1406A 1802D504
	v_mul_f32_e32 v35, v35, v121                               // 000000008548: 0A46F323
	v_mov_b32_e32 v4, v35                                      // 00000000854C: 7E080323
	v_mov_b32_e32 v5, v4                                       // 000000008550: 7E0A0304
	v_pk_mul_f32 v[60:61], v[4:5], v[60:61]                    // 000000008554: D3B1403C 18027904
	v_pk_mul_f32 v[92:93], v[4:5], v[92:93]                    // 00000000855C: D3B1405C 1802B904
	v_pk_mul_f32 v[62:63], v[4:5], v[62:63]                    // 000000008564: D3B1403E 18027D04
	v_pk_mul_f32 v[94:95], v[4:5], v[94:95]                    // 00000000856C: D3B1405E 1802BD04
	v_pk_mul_f32 v[76:77], v[4:5], v[76:77]                    // 000000008574: D3B1404C 18029904
	v_pk_mul_f32 v[108:109], v[4:5], v[108:109]                // 00000000857C: D3B1406C 1802D904
	v_pk_mul_f32 v[78:79], v[4:5], v[78:79]                    // 000000008584: D3B1404E 18029D04
	v_pk_mul_f32 v[110:111], v[4:5], v[110:111]                // 00000000858C: D3B1406E 1802DD04
	v_mul_f32_e32 v36, v36, v122                               // 000000008594: 0A48F524
	v_mov_b32_e32 v4, v36                                      // 000000008598: 7E080324
	v_mov_b32_e32 v5, v4                                       // 00000000859C: 7E0A0304
	v_pk_mul_f32 v[64:65], v[4:5], v[64:65]                    // 0000000085A0: D3B14040 18028104
	v_pk_mul_f32 v[96:97], v[4:5], v[96:97]                    // 0000000085A8: D3B14060 1802C104
	v_pk_mul_f32 v[66:67], v[4:5], v[66:67]                    // 0000000085B0: D3B14042 18028504
	v_pk_mul_f32 v[98:99], v[4:5], v[98:99]                    // 0000000085B8: D3B14062 1802C504
	v_pk_mul_f32 v[80:81], v[4:5], v[80:81]                    // 0000000085C0: D3B14050 1802A104
	v_pk_mul_f32 v[112:113], v[4:5], v[112:113]                // 0000000085C8: D3B14070 1802E104
	v_pk_mul_f32 v[82:83], v[4:5], v[82:83]                    // 0000000085D0: D3B14052 1802A504
	v_pk_mul_f32 v[114:115], v[4:5], v[114:115]                // 0000000085D8: D3B14072 1802E504
	v_mul_f32_e32 v37, v37, v123                               // 0000000085E0: 0A4AF725
	v_mov_b32_e32 v4, v37                                      // 0000000085E4: 7E080325
	v_mov_b32_e32 v5, v4                                       // 0000000085E8: 7E0A0304
	v_pk_mul_f32 v[68:69], v[4:5], v[68:69]                    // 0000000085EC: D3B14044 18028904
	v_pk_mul_f32 v[100:101], v[4:5], v[100:101]                // 0000000085F4: D3B14064 1802C904
	v_pk_mul_f32 v[70:71], v[4:5], v[70:71]                    // 0000000085FC: D3B14046 18028D04
	v_pk_mul_f32 v[102:103], v[4:5], v[102:103]                // 000000008604: D3B14066 1802CD04
	v_pk_mul_f32 v[84:85], v[4:5], v[84:85]                    // 00000000860C: D3B14054 1802A904
	v_pk_mul_f32 v[116:117], v[4:5], v[116:117]                // 000000008614: D3B14074 1802E904
	v_pk_mul_f32 v[86:87], v[4:5], v[86:87]                    // 00000000861C: D3B14056 1802AD04
	v_pk_mul_f32 v[118:119], v[4:5], v[118:119]                // 000000008624: D3B14076 1802ED04
	s_cmp_eq_u32 s88, 0                                        // 00000000862C: BF068058
	s_cbranch_scc0 label_1BD1                                  // 000000008630: BF8404C1
	s_cmp_eq_u32 s89, 0                                        // 000000008634: BF068059
	s_cbranch_scc1 label_1857                                  // 000000008638: BF850145
	v_mov_b32_e32 v8, v1                                       // 00000000863C: 7E100301
	v_mov_b32_e32 v9, v1                                       // 000000008640: 7E120301
	s_mov_b32 s60, s6                                          // 000000008644: BEBC0006
	s_mov_b32 s61, s6                                          // 000000008648: BEBD0006
	v_pk_mul_f32 v[4:5], v[56:57], v[56:57]                    // 00000000864C: D3B14004 18027138
	v_pk_mul_f32 v[6:7], v[58:59], v[58:59]                    // 000000008654: D3B14006 1802753A
	v_pk_fma_f32 v[4:5], v[4:5], s[78:79], v[8:9]              // 00000000865C: D3B04004 1C209D04
	v_pk_fma_f32 v[6:7], v[6:7], s[78:79], v[8:9]              // 000000008664: D3B04006 1C209D06
	v_pk_mul_f32 v[4:5], v[4:5], v[56:57]                      // 00000000866C: D3B14004 18027104
	v_pk_mul_f32 v[6:7], v[6:7], v[58:59]                      // 000000008674: D3B14006 18027506
	v_pk_mul_f32 v[4:5], v[4:5], s[60:61]                      // 00000000867C: D3B14004 18007904
	v_pk_mul_f32 v[6:7], v[6:7], s[60:61]                      // 000000008684: D3B14006 18007906
	v_exp_f32_e32 v4, v4                                       // 00000000868C: 7E084104
	v_exp_f32_e32 v5, v5                                       // 000000008690: 7E0A4105
	v_exp_f32_e32 v6, v6                                       // 000000008694: 7E0C4106
	v_exp_f32_e32 v7, v7                                       // 000000008698: 7E0E4107
	v_add_f32_e64 v4, v4, 1.0                                  // 00000000869C: D1010004 0001E504
	v_add_f32_e64 v5, v5, 1.0                                  // 0000000086A4: D1010005 0001E505
	v_add_f32_e64 v6, v6, 1.0                                  // 0000000086AC: D1010006 0001E506
	v_add_f32_e64 v7, v7, 1.0                                  // 0000000086B4: D1010007 0001E507
	v_rcp_f32_e32 v4, v4                                       // 0000000086BC: 7E084504
	v_rcp_f32_e32 v5, v5                                       // 0000000086C0: 7E0A4505
	v_rcp_f32_e32 v6, v6                                       // 0000000086C4: 7E0C4506
	v_rcp_f32_e32 v7, v7                                       // 0000000086C8: 7E0E4507
	v_mul_f32_e32 v56, v56, v4                                 // 0000000086CC: 0A700938
	v_mul_f32_e32 v57, v57, v5                                 // 0000000086D0: 0A720B39
	v_mul_f32_e32 v58, v58, v6                                 // 0000000086D4: 0A740D3A
	v_mul_f32_e32 v59, v59, v7                                 // 0000000086D8: 0A760F3B
	v_mul_f32_e32 v56, v56, v88                                // 0000000086DC: 0A70B138
	v_mul_f32_e32 v57, v57, v89                                // 0000000086E0: 0A72B339
	v_mul_f32_e32 v58, v58, v90                                // 0000000086E4: 0A74B53A
	v_mul_f32_e32 v59, v59, v91                                // 0000000086E8: 0A76B73B
	v_pk_mul_f32 v[4:5], v[60:61], v[60:61]                    // 0000000086EC: D3B14004 1802793C
	v_pk_mul_f32 v[6:7], v[62:63], v[62:63]                    // 0000000086F4: D3B14006 18027D3E
	v_pk_fma_f32 v[4:5], v[4:5], s[78:79], v[8:9]              // 0000000086FC: D3B04004 1C209D04
	v_pk_fma_f32 v[6:7], v[6:7], s[78:79], v[8:9]              // 000000008704: D3B04006 1C209D06
	v_pk_mul_f32 v[4:5], v[4:5], v[60:61]                      // 00000000870C: D3B14004 18027904
	v_pk_mul_f32 v[6:7], v[6:7], v[62:63]                      // 000000008714: D3B14006 18027D06
	v_pk_mul_f32 v[4:5], v[4:5], s[60:61]                      // 00000000871C: D3B14004 18007904
	v_pk_mul_f32 v[6:7], v[6:7], s[60:61]                      // 000000008724: D3B14006 18007906
	v_exp_f32_e32 v4, v4                                       // 00000000872C: 7E084104
	v_exp_f32_e32 v5, v5                                       // 000000008730: 7E0A4105
	v_exp_f32_e32 v6, v6                                       // 000000008734: 7E0C4106
	v_exp_f32_e32 v7, v7                                       // 000000008738: 7E0E4107
	v_add_f32_e64 v4, v4, 1.0                                  // 00000000873C: D1010004 0001E504
	v_add_f32_e64 v5, v5, 1.0                                  // 000000008744: D1010005 0001E505
	v_add_f32_e64 v6, v6, 1.0                                  // 00000000874C: D1010006 0001E506
	v_add_f32_e64 v7, v7, 1.0                                  // 000000008754: D1010007 0001E507
	v_rcp_f32_e32 v4, v4                                       // 00000000875C: 7E084504
	v_rcp_f32_e32 v5, v5                                       // 000000008760: 7E0A4505
	v_rcp_f32_e32 v6, v6                                       // 000000008764: 7E0C4506
	v_rcp_f32_e32 v7, v7                                       // 000000008768: 7E0E4507
	v_mul_f32_e32 v60, v60, v4                                 // 00000000876C: 0A78093C
	v_mul_f32_e32 v61, v61, v5                                 // 000000008770: 0A7A0B3D
	v_mul_f32_e32 v62, v62, v6                                 // 000000008774: 0A7C0D3E
	v_mul_f32_e32 v63, v63, v7                                 // 000000008778: 0A7E0F3F
	v_mul_f32_e32 v60, v60, v92                                // 00000000877C: 0A78B93C
	v_mul_f32_e32 v61, v61, v93                                // 000000008780: 0A7ABB3D
	v_mul_f32_e32 v62, v62, v94                                // 000000008784: 0A7CBD3E
	v_mul_f32_e32 v63, v63, v95                                // 000000008788: 0A7EBF3F
	v_pk_mul_f32 v[4:5], v[64:65], v[64:65]                    // 00000000878C: D3B14004 18028140
	v_pk_mul_f32 v[6:7], v[66:67], v[66:67]                    // 000000008794: D3B14006 18028542
	v_pk_fma_f32 v[4:5], v[4:5], s[78:79], v[8:9]              // 00000000879C: D3B04004 1C209D04
	v_pk_fma_f32 v[6:7], v[6:7], s[78:79], v[8:9]              // 0000000087A4: D3B04006 1C209D06
	v_pk_mul_f32 v[4:5], v[4:5], v[64:65]                      // 0000000087AC: D3B14004 18028104
	v_pk_mul_f32 v[6:7], v[6:7], v[66:67]                      // 0000000087B4: D3B14006 18028506
	v_pk_mul_f32 v[4:5], v[4:5], s[60:61]                      // 0000000087BC: D3B14004 18007904
	v_pk_mul_f32 v[6:7], v[6:7], s[60:61]                      // 0000000087C4: D3B14006 18007906
	v_exp_f32_e32 v4, v4                                       // 0000000087CC: 7E084104
	v_exp_f32_e32 v5, v5                                       // 0000000087D0: 7E0A4105
	v_exp_f32_e32 v6, v6                                       // 0000000087D4: 7E0C4106
	v_exp_f32_e32 v7, v7                                       // 0000000087D8: 7E0E4107
	v_add_f32_e64 v4, v4, 1.0                                  // 0000000087DC: D1010004 0001E504
	v_add_f32_e64 v5, v5, 1.0                                  // 0000000087E4: D1010005 0001E505
	v_add_f32_e64 v6, v6, 1.0                                  // 0000000087EC: D1010006 0001E506
	v_add_f32_e64 v7, v7, 1.0                                  // 0000000087F4: D1010007 0001E507
	v_rcp_f32_e32 v4, v4                                       // 0000000087FC: 7E084504
	v_rcp_f32_e32 v5, v5                                       // 000000008800: 7E0A4505
	v_rcp_f32_e32 v6, v6                                       // 000000008804: 7E0C4506
	v_rcp_f32_e32 v7, v7                                       // 000000008808: 7E0E4507
	v_mul_f32_e32 v64, v64, v4                                 // 00000000880C: 0A800940
	v_mul_f32_e32 v65, v65, v5                                 // 000000008810: 0A820B41
	v_mul_f32_e32 v66, v66, v6                                 // 000000008814: 0A840D42
	v_mul_f32_e32 v67, v67, v7                                 // 000000008818: 0A860F43
	v_mul_f32_e32 v64, v64, v96                                // 00000000881C: 0A80C140
	v_mul_f32_e32 v65, v65, v97                                // 000000008820: 0A82C341
	v_mul_f32_e32 v66, v66, v98                                // 000000008824: 0A84C542
	v_mul_f32_e32 v67, v67, v99                                // 000000008828: 0A86C743
	v_pk_mul_f32 v[4:5], v[68:69], v[68:69]                    // 00000000882C: D3B14004 18028944
	v_pk_mul_f32 v[6:7], v[70:71], v[70:71]                    // 000000008834: D3B14006 18028D46
	v_pk_fma_f32 v[4:5], v[4:5], s[78:79], v[8:9]              // 00000000883C: D3B04004 1C209D04
	v_pk_fma_f32 v[6:7], v[6:7], s[78:79], v[8:9]              // 000000008844: D3B04006 1C209D06
	v_pk_mul_f32 v[4:5], v[4:5], v[68:69]                      // 00000000884C: D3B14004 18028904
	v_pk_mul_f32 v[6:7], v[6:7], v[70:71]                      // 000000008854: D3B14006 18028D06
	v_pk_mul_f32 v[4:5], v[4:5], s[60:61]                      // 00000000885C: D3B14004 18007904
	v_pk_mul_f32 v[6:7], v[6:7], s[60:61]                      // 000000008864: D3B14006 18007906
	v_exp_f32_e32 v4, v4                                       // 00000000886C: 7E084104
	v_exp_f32_e32 v5, v5                                       // 000000008870: 7E0A4105
	v_exp_f32_e32 v6, v6                                       // 000000008874: 7E0C4106
	v_exp_f32_e32 v7, v7                                       // 000000008878: 7E0E4107
	v_add_f32_e64 v4, v4, 1.0                                  // 00000000887C: D1010004 0001E504
	v_add_f32_e64 v5, v5, 1.0                                  // 000000008884: D1010005 0001E505
	v_add_f32_e64 v6, v6, 1.0                                  // 00000000888C: D1010006 0001E506
	v_add_f32_e64 v7, v7, 1.0                                  // 000000008894: D1010007 0001E507
	v_rcp_f32_e32 v4, v4                                       // 00000000889C: 7E084504
	v_rcp_f32_e32 v5, v5                                       // 0000000088A0: 7E0A4505
	v_rcp_f32_e32 v6, v6                                       // 0000000088A4: 7E0C4506
	v_rcp_f32_e32 v7, v7                                       // 0000000088A8: 7E0E4507
	v_mul_f32_e32 v68, v68, v4                                 // 0000000088AC: 0A880944
	v_mul_f32_e32 v69, v69, v5                                 // 0000000088B0: 0A8A0B45
	v_mul_f32_e32 v70, v70, v6                                 // 0000000088B4: 0A8C0D46
	v_mul_f32_e32 v71, v71, v7                                 // 0000000088B8: 0A8E0F47
	v_mul_f32_e32 v68, v68, v100                               // 0000000088BC: 0A88C944
	v_mul_f32_e32 v69, v69, v101                               // 0000000088C0: 0A8ACB45
	v_mul_f32_e32 v70, v70, v102                               // 0000000088C4: 0A8CCD46
	v_mul_f32_e32 v71, v71, v103                               // 0000000088C8: 0A8ECF47
	v_pk_mul_f32 v[4:5], v[72:73], v[72:73]                    // 0000000088CC: D3B14004 18029148
	v_pk_mul_f32 v[6:7], v[74:75], v[74:75]                    // 0000000088D4: D3B14006 1802954A
	v_pk_fma_f32 v[4:5], v[4:5], s[78:79], v[8:9]              // 0000000088DC: D3B04004 1C209D04
	v_pk_fma_f32 v[6:7], v[6:7], s[78:79], v[8:9]              // 0000000088E4: D3B04006 1C209D06
	v_pk_mul_f32 v[4:5], v[4:5], v[72:73]                      // 0000000088EC: D3B14004 18029104
	v_pk_mul_f32 v[6:7], v[6:7], v[74:75]                      // 0000000088F4: D3B14006 18029506
	v_pk_mul_f32 v[4:5], v[4:5], s[60:61]                      // 0000000088FC: D3B14004 18007904
	v_pk_mul_f32 v[6:7], v[6:7], s[60:61]                      // 000000008904: D3B14006 18007906
	v_exp_f32_e32 v4, v4                                       // 00000000890C: 7E084104
	v_exp_f32_e32 v5, v5                                       // 000000008910: 7E0A4105
	v_exp_f32_e32 v6, v6                                       // 000000008914: 7E0C4106
	v_exp_f32_e32 v7, v7                                       // 000000008918: 7E0E4107
	v_add_f32_e64 v4, v4, 1.0                                  // 00000000891C: D1010004 0001E504
	v_add_f32_e64 v5, v5, 1.0                                  // 000000008924: D1010005 0001E505
	v_add_f32_e64 v6, v6, 1.0                                  // 00000000892C: D1010006 0001E506
	v_add_f32_e64 v7, v7, 1.0                                  // 000000008934: D1010007 0001E507
	v_rcp_f32_e32 v4, v4                                       // 00000000893C: 7E084504
	v_rcp_f32_e32 v5, v5                                       // 000000008940: 7E0A4505
	v_rcp_f32_e32 v6, v6                                       // 000000008944: 7E0C4506
	v_rcp_f32_e32 v7, v7                                       // 000000008948: 7E0E4507
	v_mul_f32_e32 v72, v72, v4                                 // 00000000894C: 0A900948
	v_mul_f32_e32 v73, v73, v5                                 // 000000008950: 0A920B49
	v_mul_f32_e32 v74, v74, v6                                 // 000000008954: 0A940D4A
	v_mul_f32_e32 v75, v75, v7                                 // 000000008958: 0A960F4B
	v_mul_f32_e32 v72, v72, v104                               // 00000000895C: 0A90D148
	v_mul_f32_e32 v73, v73, v105                               // 000000008960: 0A92D349
	v_mul_f32_e32 v74, v74, v106                               // 000000008964: 0A94D54A
	v_mul_f32_e32 v75, v75, v107                               // 000000008968: 0A96D74B
	v_pk_mul_f32 v[4:5], v[76:77], v[76:77]                    // 00000000896C: D3B14004 1802994C
	v_pk_mul_f32 v[6:7], v[78:79], v[78:79]                    // 000000008974: D3B14006 18029D4E
	v_pk_fma_f32 v[4:5], v[4:5], s[78:79], v[8:9]              // 00000000897C: D3B04004 1C209D04
	v_pk_fma_f32 v[6:7], v[6:7], s[78:79], v[8:9]              // 000000008984: D3B04006 1C209D06
	v_pk_mul_f32 v[4:5], v[4:5], v[76:77]                      // 00000000898C: D3B14004 18029904
	v_pk_mul_f32 v[6:7], v[6:7], v[78:79]                      // 000000008994: D3B14006 18029D06
	v_pk_mul_f32 v[4:5], v[4:5], s[60:61]                      // 00000000899C: D3B14004 18007904
	v_pk_mul_f32 v[6:7], v[6:7], s[60:61]                      // 0000000089A4: D3B14006 18007906
	v_exp_f32_e32 v4, v4                                       // 0000000089AC: 7E084104
	v_exp_f32_e32 v5, v5                                       // 0000000089B0: 7E0A4105
	v_exp_f32_e32 v6, v6                                       // 0000000089B4: 7E0C4106
	v_exp_f32_e32 v7, v7                                       // 0000000089B8: 7E0E4107
	v_add_f32_e64 v4, v4, 1.0                                  // 0000000089BC: D1010004 0001E504
	v_add_f32_e64 v5, v5, 1.0                                  // 0000000089C4: D1010005 0001E505
	v_add_f32_e64 v6, v6, 1.0                                  // 0000000089CC: D1010006 0001E506
	v_add_f32_e64 v7, v7, 1.0                                  // 0000000089D4: D1010007 0001E507
	v_rcp_f32_e32 v4, v4                                       // 0000000089DC: 7E084504
	v_rcp_f32_e32 v5, v5                                       // 0000000089E0: 7E0A4505
	v_rcp_f32_e32 v6, v6                                       // 0000000089E4: 7E0C4506
	v_rcp_f32_e32 v7, v7                                       // 0000000089E8: 7E0E4507
	v_mul_f32_e32 v76, v76, v4                                 // 0000000089EC: 0A98094C
	v_mul_f32_e32 v77, v77, v5                                 // 0000000089F0: 0A9A0B4D
	v_mul_f32_e32 v78, v78, v6                                 // 0000000089F4: 0A9C0D4E
	v_mul_f32_e32 v79, v79, v7                                 // 0000000089F8: 0A9E0F4F
	v_mul_f32_e32 v76, v76, v108                               // 0000000089FC: 0A98D94C
	v_mul_f32_e32 v77, v77, v109                               // 000000008A00: 0A9ADB4D
	v_mul_f32_e32 v78, v78, v110                               // 000000008A04: 0A9CDD4E
	v_mul_f32_e32 v79, v79, v111                               // 000000008A08: 0A9EDF4F
	v_pk_mul_f32 v[4:5], v[80:81], v[80:81]                    // 000000008A0C: D3B14004 1802A150
	v_pk_mul_f32 v[6:7], v[82:83], v[82:83]                    // 000000008A14: D3B14006 1802A552
	v_pk_fma_f32 v[4:5], v[4:5], s[78:79], v[8:9]              // 000000008A1C: D3B04004 1C209D04
	v_pk_fma_f32 v[6:7], v[6:7], s[78:79], v[8:9]              // 000000008A24: D3B04006 1C209D06
	v_pk_mul_f32 v[4:5], v[4:5], v[80:81]                      // 000000008A2C: D3B14004 1802A104
	v_pk_mul_f32 v[6:7], v[6:7], v[82:83]                      // 000000008A34: D3B14006 1802A506
	v_pk_mul_f32 v[4:5], v[4:5], s[60:61]                      // 000000008A3C: D3B14004 18007904
	v_pk_mul_f32 v[6:7], v[6:7], s[60:61]                      // 000000008A44: D3B14006 18007906
	v_exp_f32_e32 v4, v4                                       // 000000008A4C: 7E084104
	v_exp_f32_e32 v5, v5                                       // 000000008A50: 7E0A4105
	v_exp_f32_e32 v6, v6                                       // 000000008A54: 7E0C4106
	v_exp_f32_e32 v7, v7                                       // 000000008A58: 7E0E4107
	v_add_f32_e64 v4, v4, 1.0                                  // 000000008A5C: D1010004 0001E504
	v_add_f32_e64 v5, v5, 1.0                                  // 000000008A64: D1010005 0001E505
	v_add_f32_e64 v6, v6, 1.0                                  // 000000008A6C: D1010006 0001E506
	v_add_f32_e64 v7, v7, 1.0                                  // 000000008A74: D1010007 0001E507
	v_rcp_f32_e32 v4, v4                                       // 000000008A7C: 7E084504
	v_rcp_f32_e32 v5, v5                                       // 000000008A80: 7E0A4505
	v_rcp_f32_e32 v6, v6                                       // 000000008A84: 7E0C4506
	v_rcp_f32_e32 v7, v7                                       // 000000008A88: 7E0E4507
	v_mul_f32_e32 v80, v80, v4                                 // 000000008A8C: 0AA00950
	v_mul_f32_e32 v81, v81, v5                                 // 000000008A90: 0AA20B51
	v_mul_f32_e32 v82, v82, v6                                 // 000000008A94: 0AA40D52
	v_mul_f32_e32 v83, v83, v7                                 // 000000008A98: 0AA60F53
	v_mul_f32_e32 v80, v80, v112                               // 000000008A9C: 0AA0E150
	v_mul_f32_e32 v81, v81, v113                               // 000000008AA0: 0AA2E351
	v_mul_f32_e32 v82, v82, v114                               // 000000008AA4: 0AA4E552
	v_mul_f32_e32 v83, v83, v115                               // 000000008AA8: 0AA6E753
	v_pk_mul_f32 v[4:5], v[84:85], v[84:85]                    // 000000008AAC: D3B14004 1802A954
	v_pk_mul_f32 v[6:7], v[86:87], v[86:87]                    // 000000008AB4: D3B14006 1802AD56
	v_pk_fma_f32 v[4:5], v[4:5], s[78:79], v[8:9]              // 000000008ABC: D3B04004 1C209D04
	v_pk_fma_f32 v[6:7], v[6:7], s[78:79], v[8:9]              // 000000008AC4: D3B04006 1C209D06
	v_pk_mul_f32 v[4:5], v[4:5], v[84:85]                      // 000000008ACC: D3B14004 1802A904
	v_pk_mul_f32 v[6:7], v[6:7], v[86:87]                      // 000000008AD4: D3B14006 1802AD06
	v_pk_mul_f32 v[4:5], v[4:5], s[60:61]                      // 000000008ADC: D3B14004 18007904
	v_pk_mul_f32 v[6:7], v[6:7], s[60:61]                      // 000000008AE4: D3B14006 18007906
	v_exp_f32_e32 v4, v4                                       // 000000008AEC: 7E084104
	v_exp_f32_e32 v5, v5                                       // 000000008AF0: 7E0A4105
	v_exp_f32_e32 v6, v6                                       // 000000008AF4: 7E0C4106
	v_exp_f32_e32 v7, v7                                       // 000000008AF8: 7E0E4107
	v_add_f32_e64 v4, v4, 1.0                                  // 000000008AFC: D1010004 0001E504
	v_add_f32_e64 v5, v5, 1.0                                  // 000000008B04: D1010005 0001E505
	v_add_f32_e64 v6, v6, 1.0                                  // 000000008B0C: D1010006 0001E506
	v_add_f32_e64 v7, v7, 1.0                                  // 000000008B14: D1010007 0001E507
	v_rcp_f32_e32 v4, v4                                       // 000000008B1C: 7E084504
	v_rcp_f32_e32 v5, v5                                       // 000000008B20: 7E0A4505
	v_rcp_f32_e32 v6, v6                                       // 000000008B24: 7E0C4506
	v_rcp_f32_e32 v7, v7                                       // 000000008B28: 7E0E4507
	v_mul_f32_e32 v84, v84, v4                                 // 000000008B2C: 0AA80954
	v_mul_f32_e32 v85, v85, v5                                 // 000000008B30: 0AAA0B55
	v_mul_f32_e32 v86, v86, v6                                 // 000000008B34: 0AAC0D56
	v_mul_f32_e32 v87, v87, v7                                 // 000000008B38: 0AAE0F57
	v_mul_f32_e32 v84, v84, v116                               // 000000008B3C: 0AA8E954
	v_mul_f32_e32 v85, v85, v117                               // 000000008B40: 0AAAEB55
	v_mul_f32_e32 v86, v86, v118                               // 000000008B44: 0AACED56
	v_mul_f32_e32 v87, v87, v119                               // 000000008B48: 0AAEEF57
	s_branch label_1957                                        // 000000008B4C: BF820100

0000000000008b50 <label_1857>:
	v_mul_f32_e64 v4, -v56, s6                                 // 000000008B50: D1050004 20000D38
	v_mul_f32_e64 v5, -v57, s6                                 // 000000008B58: D1050005 20000D39
	v_mul_f32_e64 v6, -v58, s6                                 // 000000008B60: D1050006 20000D3A
	v_mul_f32_e64 v7, -v59, s6                                 // 000000008B68: D1050007 20000D3B
	v_exp_f32_e32 v4, v4                                       // 000000008B70: 7E084104
	v_exp_f32_e32 v5, v5                                       // 000000008B74: 7E0A4105
	v_exp_f32_e32 v6, v6                                       // 000000008B78: 7E0C4106
	v_exp_f32_e32 v7, v7                                       // 000000008B7C: 7E0E4107
	v_add_f32_e64 v4, v4, 1.0                                  // 000000008B80: D1010004 0001E504
	v_add_f32_e64 v5, v5, 1.0                                  // 000000008B88: D1010005 0001E505
	v_add_f32_e64 v6, v6, 1.0                                  // 000000008B90: D1010006 0001E506
	v_add_f32_e64 v7, v7, 1.0                                  // 000000008B98: D1010007 0001E507
	v_rcp_f32_e32 v4, v4                                       // 000000008BA0: 7E084504
	v_rcp_f32_e32 v5, v5                                       // 000000008BA4: 7E0A4505
	v_rcp_f32_e32 v6, v6                                       // 000000008BA8: 7E0C4506
	v_rcp_f32_e32 v7, v7                                       // 000000008BAC: 7E0E4507
	v_mul_f32_e32 v56, v56, v4                                 // 000000008BB0: 0A700938
	v_mul_f32_e32 v57, v57, v5                                 // 000000008BB4: 0A720B39
	v_mul_f32_e32 v58, v58, v6                                 // 000000008BB8: 0A740D3A
	v_mul_f32_e32 v59, v59, v7                                 // 000000008BBC: 0A760F3B
	v_mul_f32_e32 v56, v56, v88                                // 000000008BC0: 0A70B138
	v_mul_f32_e32 v57, v57, v89                                // 000000008BC4: 0A72B339
	v_mul_f32_e32 v58, v58, v90                                // 000000008BC8: 0A74B53A
	v_mul_f32_e32 v59, v59, v91                                // 000000008BCC: 0A76B73B
	v_mul_f32_e64 v4, -v60, s6                                 // 000000008BD0: D1050004 20000D3C
	v_mul_f32_e64 v5, -v61, s6                                 // 000000008BD8: D1050005 20000D3D
	v_mul_f32_e64 v6, -v62, s6                                 // 000000008BE0: D1050006 20000D3E
	v_mul_f32_e64 v7, -v63, s6                                 // 000000008BE8: D1050007 20000D3F
	v_exp_f32_e32 v4, v4                                       // 000000008BF0: 7E084104
	v_exp_f32_e32 v5, v5                                       // 000000008BF4: 7E0A4105
	v_exp_f32_e32 v6, v6                                       // 000000008BF8: 7E0C4106
	v_exp_f32_e32 v7, v7                                       // 000000008BFC: 7E0E4107
	v_add_f32_e64 v4, v4, 1.0                                  // 000000008C00: D1010004 0001E504
	v_add_f32_e64 v5, v5, 1.0                                  // 000000008C08: D1010005 0001E505
	v_add_f32_e64 v6, v6, 1.0                                  // 000000008C10: D1010006 0001E506
	v_add_f32_e64 v7, v7, 1.0                                  // 000000008C18: D1010007 0001E507
	v_rcp_f32_e32 v4, v4                                       // 000000008C20: 7E084504
	v_rcp_f32_e32 v5, v5                                       // 000000008C24: 7E0A4505
	v_rcp_f32_e32 v6, v6                                       // 000000008C28: 7E0C4506
	v_rcp_f32_e32 v7, v7                                       // 000000008C2C: 7E0E4507
	v_mul_f32_e32 v60, v60, v4                                 // 000000008C30: 0A78093C
	v_mul_f32_e32 v61, v61, v5                                 // 000000008C34: 0A7A0B3D
	v_mul_f32_e32 v62, v62, v6                                 // 000000008C38: 0A7C0D3E
	v_mul_f32_e32 v63, v63, v7                                 // 000000008C3C: 0A7E0F3F
	v_mul_f32_e32 v60, v60, v92                                // 000000008C40: 0A78B93C
	v_mul_f32_e32 v61, v61, v93                                // 000000008C44: 0A7ABB3D
	v_mul_f32_e32 v62, v62, v94                                // 000000008C48: 0A7CBD3E
	v_mul_f32_e32 v63, v63, v95                                // 000000008C4C: 0A7EBF3F
	v_mul_f32_e64 v4, -v64, s6                                 // 000000008C50: D1050004 20000D40
	v_mul_f32_e64 v5, -v65, s6                                 // 000000008C58: D1050005 20000D41
	v_mul_f32_e64 v6, -v66, s6                                 // 000000008C60: D1050006 20000D42
	v_mul_f32_e64 v7, -v67, s6                                 // 000000008C68: D1050007 20000D43
	v_exp_f32_e32 v4, v4                                       // 000000008C70: 7E084104
	v_exp_f32_e32 v5, v5                                       // 000000008C74: 7E0A4105
	v_exp_f32_e32 v6, v6                                       // 000000008C78: 7E0C4106
	v_exp_f32_e32 v7, v7                                       // 000000008C7C: 7E0E4107
	v_add_f32_e64 v4, v4, 1.0                                  // 000000008C80: D1010004 0001E504
	v_add_f32_e64 v5, v5, 1.0                                  // 000000008C88: D1010005 0001E505
	v_add_f32_e64 v6, v6, 1.0                                  // 000000008C90: D1010006 0001E506
	v_add_f32_e64 v7, v7, 1.0                                  // 000000008C98: D1010007 0001E507
	v_rcp_f32_e32 v4, v4                                       // 000000008CA0: 7E084504
	v_rcp_f32_e32 v5, v5                                       // 000000008CA4: 7E0A4505
	v_rcp_f32_e32 v6, v6                                       // 000000008CA8: 7E0C4506
	v_rcp_f32_e32 v7, v7                                       // 000000008CAC: 7E0E4507
	v_mul_f32_e32 v64, v64, v4                                 // 000000008CB0: 0A800940
	v_mul_f32_e32 v65, v65, v5                                 // 000000008CB4: 0A820B41
	v_mul_f32_e32 v66, v66, v6                                 // 000000008CB8: 0A840D42
	v_mul_f32_e32 v67, v67, v7                                 // 000000008CBC: 0A860F43
	v_mul_f32_e32 v64, v64, v96                                // 000000008CC0: 0A80C140
	v_mul_f32_e32 v65, v65, v97                                // 000000008CC4: 0A82C341
	v_mul_f32_e32 v66, v66, v98                                // 000000008CC8: 0A84C542
	v_mul_f32_e32 v67, v67, v99                                // 000000008CCC: 0A86C743
	v_mul_f32_e64 v4, -v68, s6                                 // 000000008CD0: D1050004 20000D44
	v_mul_f32_e64 v5, -v69, s6                                 // 000000008CD8: D1050005 20000D45
	v_mul_f32_e64 v6, -v70, s6                                 // 000000008CE0: D1050006 20000D46
	v_mul_f32_e64 v7, -v71, s6                                 // 000000008CE8: D1050007 20000D47
	v_exp_f32_e32 v4, v4                                       // 000000008CF0: 7E084104
	v_exp_f32_e32 v5, v5                                       // 000000008CF4: 7E0A4105
	v_exp_f32_e32 v6, v6                                       // 000000008CF8: 7E0C4106
	v_exp_f32_e32 v7, v7                                       // 000000008CFC: 7E0E4107
	v_add_f32_e64 v4, v4, 1.0                                  // 000000008D00: D1010004 0001E504
	v_add_f32_e64 v5, v5, 1.0                                  // 000000008D08: D1010005 0001E505
	v_add_f32_e64 v6, v6, 1.0                                  // 000000008D10: D1010006 0001E506
	v_add_f32_e64 v7, v7, 1.0                                  // 000000008D18: D1010007 0001E507
	v_rcp_f32_e32 v4, v4                                       // 000000008D20: 7E084504
	v_rcp_f32_e32 v5, v5                                       // 000000008D24: 7E0A4505
	v_rcp_f32_e32 v6, v6                                       // 000000008D28: 7E0C4506
	v_rcp_f32_e32 v7, v7                                       // 000000008D2C: 7E0E4507
	v_mul_f32_e32 v68, v68, v4                                 // 000000008D30: 0A880944
	v_mul_f32_e32 v69, v69, v5                                 // 000000008D34: 0A8A0B45
	v_mul_f32_e32 v70, v70, v6                                 // 000000008D38: 0A8C0D46
	v_mul_f32_e32 v71, v71, v7                                 // 000000008D3C: 0A8E0F47
	v_mul_f32_e32 v68, v68, v100                               // 000000008D40: 0A88C944
	v_mul_f32_e32 v69, v69, v101                               // 000000008D44: 0A8ACB45
	v_mul_f32_e32 v70, v70, v102                               // 000000008D48: 0A8CCD46
	v_mul_f32_e32 v71, v71, v103                               // 000000008D4C: 0A8ECF47
	v_mul_f32_e64 v4, -v72, s6                                 // 000000008D50: D1050004 20000D48
	v_mul_f32_e64 v5, -v73, s6                                 // 000000008D58: D1050005 20000D49
	v_mul_f32_e64 v6, -v74, s6                                 // 000000008D60: D1050006 20000D4A
	v_mul_f32_e64 v7, -v75, s6                                 // 000000008D68: D1050007 20000D4B
	v_exp_f32_e32 v4, v4                                       // 000000008D70: 7E084104
	v_exp_f32_e32 v5, v5                                       // 000000008D74: 7E0A4105
	v_exp_f32_e32 v6, v6                                       // 000000008D78: 7E0C4106
	v_exp_f32_e32 v7, v7                                       // 000000008D7C: 7E0E4107
	v_add_f32_e64 v4, v4, 1.0                                  // 000000008D80: D1010004 0001E504
	v_add_f32_e64 v5, v5, 1.0                                  // 000000008D88: D1010005 0001E505
	v_add_f32_e64 v6, v6, 1.0                                  // 000000008D90: D1010006 0001E506
	v_add_f32_e64 v7, v7, 1.0                                  // 000000008D98: D1010007 0001E507
	v_rcp_f32_e32 v4, v4                                       // 000000008DA0: 7E084504
	v_rcp_f32_e32 v5, v5                                       // 000000008DA4: 7E0A4505
	v_rcp_f32_e32 v6, v6                                       // 000000008DA8: 7E0C4506
	v_rcp_f32_e32 v7, v7                                       // 000000008DAC: 7E0E4507
	v_mul_f32_e32 v72, v72, v4                                 // 000000008DB0: 0A900948
	v_mul_f32_e32 v73, v73, v5                                 // 000000008DB4: 0A920B49
	v_mul_f32_e32 v74, v74, v6                                 // 000000008DB8: 0A940D4A
	v_mul_f32_e32 v75, v75, v7                                 // 000000008DBC: 0A960F4B
	v_mul_f32_e32 v72, v72, v104                               // 000000008DC0: 0A90D148
	v_mul_f32_e32 v73, v73, v105                               // 000000008DC4: 0A92D349
	v_mul_f32_e32 v74, v74, v106                               // 000000008DC8: 0A94D54A
	v_mul_f32_e32 v75, v75, v107                               // 000000008DCC: 0A96D74B
	v_mul_f32_e64 v4, -v76, s6                                 // 000000008DD0: D1050004 20000D4C
	v_mul_f32_e64 v5, -v77, s6                                 // 000000008DD8: D1050005 20000D4D
	v_mul_f32_e64 v6, -v78, s6                                 // 000000008DE0: D1050006 20000D4E
	v_mul_f32_e64 v7, -v79, s6                                 // 000000008DE8: D1050007 20000D4F
	v_exp_f32_e32 v4, v4                                       // 000000008DF0: 7E084104
	v_exp_f32_e32 v5, v5                                       // 000000008DF4: 7E0A4105
	v_exp_f32_e32 v6, v6                                       // 000000008DF8: 7E0C4106
	v_exp_f32_e32 v7, v7                                       // 000000008DFC: 7E0E4107
	v_add_f32_e64 v4, v4, 1.0                                  // 000000008E00: D1010004 0001E504
	v_add_f32_e64 v5, v5, 1.0                                  // 000000008E08: D1010005 0001E505
	v_add_f32_e64 v6, v6, 1.0                                  // 000000008E10: D1010006 0001E506
	v_add_f32_e64 v7, v7, 1.0                                  // 000000008E18: D1010007 0001E507
	v_rcp_f32_e32 v4, v4                                       // 000000008E20: 7E084504
	v_rcp_f32_e32 v5, v5                                       // 000000008E24: 7E0A4505
	v_rcp_f32_e32 v6, v6                                       // 000000008E28: 7E0C4506
	v_rcp_f32_e32 v7, v7                                       // 000000008E2C: 7E0E4507
	v_mul_f32_e32 v76, v76, v4                                 // 000000008E30: 0A98094C
	v_mul_f32_e32 v77, v77, v5                                 // 000000008E34: 0A9A0B4D
	v_mul_f32_e32 v78, v78, v6                                 // 000000008E38: 0A9C0D4E
	v_mul_f32_e32 v79, v79, v7                                 // 000000008E3C: 0A9E0F4F
	v_mul_f32_e32 v76, v76, v108                               // 000000008E40: 0A98D94C
	v_mul_f32_e32 v77, v77, v109                               // 000000008E44: 0A9ADB4D
	v_mul_f32_e32 v78, v78, v110                               // 000000008E48: 0A9CDD4E
	v_mul_f32_e32 v79, v79, v111                               // 000000008E4C: 0A9EDF4F
	v_mul_f32_e64 v4, -v80, s6                                 // 000000008E50: D1050004 20000D50
	v_mul_f32_e64 v5, -v81, s6                                 // 000000008E58: D1050005 20000D51
	v_mul_f32_e64 v6, -v82, s6                                 // 000000008E60: D1050006 20000D52
	v_mul_f32_e64 v7, -v83, s6                                 // 000000008E68: D1050007 20000D53
	v_exp_f32_e32 v4, v4                                       // 000000008E70: 7E084104
	v_exp_f32_e32 v5, v5                                       // 000000008E74: 7E0A4105
	v_exp_f32_e32 v6, v6                                       // 000000008E78: 7E0C4106
	v_exp_f32_e32 v7, v7                                       // 000000008E7C: 7E0E4107
	v_add_f32_e64 v4, v4, 1.0                                  // 000000008E80: D1010004 0001E504
	v_add_f32_e64 v5, v5, 1.0                                  // 000000008E88: D1010005 0001E505
	v_add_f32_e64 v6, v6, 1.0                                  // 000000008E90: D1010006 0001E506
	v_add_f32_e64 v7, v7, 1.0                                  // 000000008E98: D1010007 0001E507
	v_rcp_f32_e32 v4, v4                                       // 000000008EA0: 7E084504
	v_rcp_f32_e32 v5, v5                                       // 000000008EA4: 7E0A4505
	v_rcp_f32_e32 v6, v6                                       // 000000008EA8: 7E0C4506
	v_rcp_f32_e32 v7, v7                                       // 000000008EAC: 7E0E4507
	v_mul_f32_e32 v80, v80, v4                                 // 000000008EB0: 0AA00950
	v_mul_f32_e32 v81, v81, v5                                 // 000000008EB4: 0AA20B51
	v_mul_f32_e32 v82, v82, v6                                 // 000000008EB8: 0AA40D52
	v_mul_f32_e32 v83, v83, v7                                 // 000000008EBC: 0AA60F53
	v_mul_f32_e32 v80, v80, v112                               // 000000008EC0: 0AA0E150
	v_mul_f32_e32 v81, v81, v113                               // 000000008EC4: 0AA2E351
	v_mul_f32_e32 v82, v82, v114                               // 000000008EC8: 0AA4E552
	v_mul_f32_e32 v83, v83, v115                               // 000000008ECC: 0AA6E753
	v_mul_f32_e64 v4, -v84, s6                                 // 000000008ED0: D1050004 20000D54
	v_mul_f32_e64 v5, -v85, s6                                 // 000000008ED8: D1050005 20000D55
	v_mul_f32_e64 v6, -v86, s6                                 // 000000008EE0: D1050006 20000D56
	v_mul_f32_e64 v7, -v87, s6                                 // 000000008EE8: D1050007 20000D57
	v_exp_f32_e32 v4, v4                                       // 000000008EF0: 7E084104
	v_exp_f32_e32 v5, v5                                       // 000000008EF4: 7E0A4105
	v_exp_f32_e32 v6, v6                                       // 000000008EF8: 7E0C4106
	v_exp_f32_e32 v7, v7                                       // 000000008EFC: 7E0E4107
	v_add_f32_e64 v4, v4, 1.0                                  // 000000008F00: D1010004 0001E504
	v_add_f32_e64 v5, v5, 1.0                                  // 000000008F08: D1010005 0001E505
	v_add_f32_e64 v6, v6, 1.0                                  // 000000008F10: D1010006 0001E506
	v_add_f32_e64 v7, v7, 1.0                                  // 000000008F18: D1010007 0001E507
	v_rcp_f32_e32 v4, v4                                       // 000000008F20: 7E084504
	v_rcp_f32_e32 v5, v5                                       // 000000008F24: 7E0A4505
	v_rcp_f32_e32 v6, v6                                       // 000000008F28: 7E0C4506
	v_rcp_f32_e32 v7, v7                                       // 000000008F2C: 7E0E4507
	v_mul_f32_e32 v84, v84, v4                                 // 000000008F30: 0AA80954
	v_mul_f32_e32 v85, v85, v5                                 // 000000008F34: 0AAA0B55
	v_mul_f32_e32 v86, v86, v6                                 // 000000008F38: 0AAC0D56
	v_mul_f32_e32 v87, v87, v7                                 // 000000008F3C: 0AAE0F57
	v_mul_f32_e32 v84, v84, v116                               // 000000008F40: 0AA8E954
	v_mul_f32_e32 v85, v85, v117                               // 000000008F44: 0AAAEB55
	v_mul_f32_e32 v86, v86, v118                               // 000000008F48: 0AACED56
	v_mul_f32_e32 v87, v87, v119                               // 000000008F4C: 0AAEEF57

0000000000008f50 <label_1957>:
	v_cmp_u_f32_e64 s[46:47], v56, v56                         // 000000008F50: D048002E 00027138
	v_add3_u32 v16, v56, v19, 1                                // 000000008F58: D1FF0010 02062738
	v_cndmask_b32_e64 v4, v16, v18, s[46:47]                   // 000000008F60: D1000004 00BA2510
	v_cmp_u_f32_e64 s[46:47], v57, v57                         // 000000008F68: D048002E 00027339
	v_add3_u32 v16, v57, v19, 1                                // 000000008F70: D1FF0010 02062739
	v_cndmask_b32_e64 v5, v16, v18, s[46:47]                   // 000000008F78: D1000005 00BA2510
	v_perm_b32 v56, v5, v4, s52                                // 000000008F80: D1ED0038 00D20905
	v_cmp_u_f32_e64 s[46:47], v58, v58                         // 000000008F88: D048002E 0002753A
	v_add3_u32 v16, v58, v19, 1                                // 000000008F90: D1FF0010 0206273A
	v_cndmask_b32_e64 v4, v16, v18, s[46:47]                   // 000000008F98: D1000004 00BA2510
	v_cmp_u_f32_e64 s[46:47], v59, v59                         // 000000008FA0: D048002E 0002773B
	v_add3_u32 v16, v59, v19, 1                                // 000000008FA8: D1FF0010 0206273B
	v_cndmask_b32_e64 v5, v16, v18, s[46:47]                   // 000000008FB0: D1000005 00BA2510
	v_perm_b32 v57, v5, v4, s52                                // 000000008FB8: D1ED0039 00D20905
	v_cmp_u_f32_e64 s[46:47], v60, v60                         // 000000008FC0: D048002E 0002793C
	v_add3_u32 v16, v60, v19, 1                                // 000000008FC8: D1FF0010 0206273C
	v_cndmask_b32_e64 v4, v16, v18, s[46:47]                   // 000000008FD0: D1000004 00BA2510
	v_cmp_u_f32_e64 s[46:47], v61, v61                         // 000000008FD8: D048002E 00027B3D
	v_add3_u32 v16, v61, v19, 1                                // 000000008FE0: D1FF0010 0206273D
	v_cndmask_b32_e64 v5, v16, v18, s[46:47]                   // 000000008FE8: D1000005 00BA2510
	v_perm_b32 v58, v5, v4, s52                                // 000000008FF0: D1ED003A 00D20905
	v_cmp_u_f32_e64 s[46:47], v62, v62                         // 000000008FF8: D048002E 00027D3E
	v_add3_u32 v16, v62, v19, 1                                // 000000009000: D1FF0010 0206273E
	v_cndmask_b32_e64 v4, v16, v18, s[46:47]                   // 000000009008: D1000004 00BA2510
	v_cmp_u_f32_e64 s[46:47], v63, v63                         // 000000009010: D048002E 00027F3F
	v_add3_u32 v16, v63, v19, 1                                // 000000009018: D1FF0010 0206273F
	v_cndmask_b32_e64 v5, v16, v18, s[46:47]                   // 000000009020: D1000005 00BA2510
	v_perm_b32 v59, v5, v4, s52                                // 000000009028: D1ED003B 00D20905
	v_cmp_u_f32_e64 s[46:47], v64, v64                         // 000000009030: D048002E 00028140
	v_add3_u32 v16, v64, v19, 1                                // 000000009038: D1FF0010 02062740
	v_cndmask_b32_e64 v4, v16, v18, s[46:47]                   // 000000009040: D1000004 00BA2510
	v_cmp_u_f32_e64 s[46:47], v65, v65                         // 000000009048: D048002E 00028341
	v_add3_u32 v16, v65, v19, 1                                // 000000009050: D1FF0010 02062741
	v_cndmask_b32_e64 v5, v16, v18, s[46:47]                   // 000000009058: D1000005 00BA2510
	v_perm_b32 v60, v5, v4, s52                                // 000000009060: D1ED003C 00D20905
	v_cmp_u_f32_e64 s[46:47], v66, v66                         // 000000009068: D048002E 00028542
	v_add3_u32 v16, v66, v19, 1                                // 000000009070: D1FF0010 02062742
	v_cndmask_b32_e64 v4, v16, v18, s[46:47]                   // 000000009078: D1000004 00BA2510
	v_cmp_u_f32_e64 s[46:47], v67, v67                         // 000000009080: D048002E 00028743
	v_add3_u32 v16, v67, v19, 1                                // 000000009088: D1FF0010 02062743
	v_cndmask_b32_e64 v5, v16, v18, s[46:47]                   // 000000009090: D1000005 00BA2510
	v_perm_b32 v61, v5, v4, s52                                // 000000009098: D1ED003D 00D20905
	v_cmp_u_f32_e64 s[46:47], v68, v68                         // 0000000090A0: D048002E 00028944
	v_add3_u32 v16, v68, v19, 1                                // 0000000090A8: D1FF0010 02062744
	v_cndmask_b32_e64 v4, v16, v18, s[46:47]                   // 0000000090B0: D1000004 00BA2510
	v_cmp_u_f32_e64 s[46:47], v69, v69                         // 0000000090B8: D048002E 00028B45
	v_add3_u32 v16, v69, v19, 1                                // 0000000090C0: D1FF0010 02062745
	v_cndmask_b32_e64 v5, v16, v18, s[46:47]                   // 0000000090C8: D1000005 00BA2510
	v_perm_b32 v62, v5, v4, s52                                // 0000000090D0: D1ED003E 00D20905
	v_cmp_u_f32_e64 s[46:47], v70, v70                         // 0000000090D8: D048002E 00028D46
	v_add3_u32 v16, v70, v19, 1                                // 0000000090E0: D1FF0010 02062746
	v_cndmask_b32_e64 v4, v16, v18, s[46:47]                   // 0000000090E8: D1000004 00BA2510
	v_cmp_u_f32_e64 s[46:47], v71, v71                         // 0000000090F0: D048002E 00028F47
	v_add3_u32 v16, v71, v19, 1                                // 0000000090F8: D1FF0010 02062747
	v_cndmask_b32_e64 v5, v16, v18, s[46:47]                   // 000000009100: D1000005 00BA2510
	v_perm_b32 v63, v5, v4, s52                                // 000000009108: D1ED003F 00D20905
	v_cmp_u_f32_e64 s[46:47], v72, v72                         // 000000009110: D048002E 00029148
	v_add3_u32 v16, v72, v19, 1                                // 000000009118: D1FF0010 02062748
	v_cndmask_b32_e64 v4, v16, v18, s[46:47]                   // 000000009120: D1000004 00BA2510
	v_cmp_u_f32_e64 s[46:47], v73, v73                         // 000000009128: D048002E 00029349
	v_add3_u32 v16, v73, v19, 1                                // 000000009130: D1FF0010 02062749
	v_cndmask_b32_e64 v5, v16, v18, s[46:47]                   // 000000009138: D1000005 00BA2510
	v_perm_b32 v64, v5, v4, s52                                // 000000009140: D1ED0040 00D20905
	v_cmp_u_f32_e64 s[46:47], v74, v74                         // 000000009148: D048002E 0002954A
	v_add3_u32 v16, v74, v19, 1                                // 000000009150: D1FF0010 0206274A
	v_cndmask_b32_e64 v4, v16, v18, s[46:47]                   // 000000009158: D1000004 00BA2510
	v_cmp_u_f32_e64 s[46:47], v75, v75                         // 000000009160: D048002E 0002974B
	v_add3_u32 v16, v75, v19, 1                                // 000000009168: D1FF0010 0206274B
	v_cndmask_b32_e64 v5, v16, v18, s[46:47]                   // 000000009170: D1000005 00BA2510
	v_perm_b32 v65, v5, v4, s52                                // 000000009178: D1ED0041 00D20905
	v_cmp_u_f32_e64 s[46:47], v76, v76                         // 000000009180: D048002E 0002994C
	v_add3_u32 v16, v76, v19, 1                                // 000000009188: D1FF0010 0206274C
	v_cndmask_b32_e64 v4, v16, v18, s[46:47]                   // 000000009190: D1000004 00BA2510
	v_cmp_u_f32_e64 s[46:47], v77, v77                         // 000000009198: D048002E 00029B4D
	v_add3_u32 v16, v77, v19, 1                                // 0000000091A0: D1FF0010 0206274D
	v_cndmask_b32_e64 v5, v16, v18, s[46:47]                   // 0000000091A8: D1000005 00BA2510
	v_perm_b32 v66, v5, v4, s52                                // 0000000091B0: D1ED0042 00D20905
	v_cmp_u_f32_e64 s[46:47], v78, v78                         // 0000000091B8: D048002E 00029D4E
	v_add3_u32 v16, v78, v19, 1                                // 0000000091C0: D1FF0010 0206274E
	v_cndmask_b32_e64 v4, v16, v18, s[46:47]                   // 0000000091C8: D1000004 00BA2510
	v_cmp_u_f32_e64 s[46:47], v79, v79                         // 0000000091D0: D048002E 00029F4F
	v_add3_u32 v16, v79, v19, 1                                // 0000000091D8: D1FF0010 0206274F
	v_cndmask_b32_e64 v5, v16, v18, s[46:47]                   // 0000000091E0: D1000005 00BA2510
	v_perm_b32 v67, v5, v4, s52                                // 0000000091E8: D1ED0043 00D20905
	v_cmp_u_f32_e64 s[46:47], v80, v80                         // 0000000091F0: D048002E 0002A150
	v_add3_u32 v16, v80, v19, 1                                // 0000000091F8: D1FF0010 02062750
	v_cndmask_b32_e64 v4, v16, v18, s[46:47]                   // 000000009200: D1000004 00BA2510
	v_cmp_u_f32_e64 s[46:47], v81, v81                         // 000000009208: D048002E 0002A351
	v_add3_u32 v16, v81, v19, 1                                // 000000009210: D1FF0010 02062751
	v_cndmask_b32_e64 v5, v16, v18, s[46:47]                   // 000000009218: D1000005 00BA2510
	v_perm_b32 v68, v5, v4, s52                                // 000000009220: D1ED0044 00D20905
	v_cmp_u_f32_e64 s[46:47], v82, v82                         // 000000009228: D048002E 0002A552
	v_add3_u32 v16, v82, v19, 1                                // 000000009230: D1FF0010 02062752
	v_cndmask_b32_e64 v4, v16, v18, s[46:47]                   // 000000009238: D1000004 00BA2510
	v_cmp_u_f32_e64 s[46:47], v83, v83                         // 000000009240: D048002E 0002A753
	v_add3_u32 v16, v83, v19, 1                                // 000000009248: D1FF0010 02062753
	v_cndmask_b32_e64 v5, v16, v18, s[46:47]                   // 000000009250: D1000005 00BA2510
	v_perm_b32 v69, v5, v4, s52                                // 000000009258: D1ED0045 00D20905
	v_cmp_u_f32_e64 s[46:47], v84, v84                         // 000000009260: D048002E 0002A954
	v_add3_u32 v16, v84, v19, 1                                // 000000009268: D1FF0010 02062754
	v_cndmask_b32_e64 v4, v16, v18, s[46:47]                   // 000000009270: D1000004 00BA2510
	v_cmp_u_f32_e64 s[46:47], v85, v85                         // 000000009278: D048002E 0002AB55
	v_add3_u32 v16, v85, v19, 1                                // 000000009280: D1FF0010 02062755
	v_cndmask_b32_e64 v5, v16, v18, s[46:47]                   // 000000009288: D1000005 00BA2510
	v_perm_b32 v70, v5, v4, s52                                // 000000009290: D1ED0046 00D20905
	v_cmp_u_f32_e64 s[46:47], v86, v86                         // 000000009298: D048002E 0002AD56
	v_add3_u32 v16, v86, v19, 1                                // 0000000092A0: D1FF0010 02062756
	v_cndmask_b32_e64 v4, v16, v18, s[46:47]                   // 0000000092A8: D1000004 00BA2510
	v_cmp_u_f32_e64 s[46:47], v87, v87                         // 0000000092B0: D048002E 0002AF57
	v_add3_u32 v16, v87, v19, 1                                // 0000000092B8: D1FF0010 02062757
	v_cndmask_b32_e64 v5, v16, v18, s[46:47]                   // 0000000092C0: D1000005 00BA2510
	v_perm_b32 v71, v5, v4, s52                                // 0000000092C8: D1ED0047 00D20905
	ds_write_b64 v20, v[56:57]                                 // 0000000092D0: D89A0000 00003814
	ds_write_b64 v20, v[58:59] offset:4352                     // 0000000092D8: D89A1100 00003A14
	ds_write_b64 v20, v[60:61] offset:8704                     // 0000000092E0: D89A2200 00003C14
	ds_write_b64 v20, v[62:63] offset:13056                    // 0000000092E8: D89A3300 00003E14
	ds_write_b64 v20, v[64:65] offset:2176                     // 0000000092F0: D89A0880 00004014
	ds_write_b64 v20, v[66:67] offset:6528                     // 0000000092F8: D89A1980 00004214
	ds_write_b64 v20, v[68:69] offset:10880                    // 000000009300: D89A2A80 00004414
	ds_write_b64 v20, v[70:71] offset:15232                    // 000000009308: D89A3B80 00004614
	v_lshrrev_b32_e32 v4, 5, v0                                // 000000009310: 20080085
	v_xor_b32_e32 v5, 1, v4                                    // 000000009314: 2A0A0881
	s_mul_i32 s60, s65, 2                                      // 000000009318: 923C8241
	s_cmp_eq_u32 s88, 0                                        // 00000000931C: BF068058
	s_cselect_b32 s61, 1, 4                                    // 000000009320: 853D8481
	s_mul_i32 s60, s61, s60                                    // 000000009324: 923C3C3D
	v_readlane_b32 s82, v3, 0                                  // 000000009328: D2890052 00010103
	s_lshr_b32 s61, s82, 24                                    // 000000009330: 8F3D9852
	s_and_b32 s82, s82, 0xffffff                               // 000000009334: 8652FF52 00FFFFFF
	s_mul_i32 s82, s82, s71                                    // 00000000933C: 92524752
	s_mul_i32 s61, s60, s61                                    // 000000009340: 923D3D3C
	s_add_u32 s82, s82, s61                                    // 000000009344: 80523D52
	v_mul_lo_u32 v6, v5, s82                                   // 000000009348: D2850006 0000A505
	v_readlane_b32 s82, v3, 1                                  // 000000009350: D2890052 00010303
	s_lshr_b32 s61, s82, 24                                    // 000000009358: 8F3D9852
	s_and_b32 s82, s82, 0xffffff                               // 00000000935C: 8652FF52 00FFFFFF
	s_mul_i32 s82, s82, s71                                    // 000000009364: 92524752
	s_mul_i32 s61, s60, s61                                    // 000000009368: 923D3D3C
	s_add_u32 s82, s82, s61                                    // 00000000936C: 80523D52
	v_mul_lo_u32 v7, v4, s82                                   // 000000009370: D2850007 0000A504
	v_add_u32_e32 v46, v6, v7                                  // 000000009378: 685C0F06
	v_readlane_b32 s82, v3, 2                                  // 00000000937C: D2890052 00010503
	s_lshr_b32 s61, s82, 24                                    // 000000009384: 8F3D9852
	s_and_b32 s82, s82, 0xffffff                               // 000000009388: 8652FF52 00FFFFFF
	s_mul_i32 s82, s82, s71                                    // 000000009390: 92524752
	s_mul_i32 s61, s60, s61                                    // 000000009394: 923D3D3C
	s_add_u32 s82, s82, s61                                    // 000000009398: 80523D52
	v_mul_lo_u32 v6, v5, s82                                   // 00000000939C: D2850006 0000A505
	v_readlane_b32 s82, v3, 3                                  // 0000000093A4: D2890052 00010703
	s_lshr_b32 s61, s82, 24                                    // 0000000093AC: 8F3D9852
	s_and_b32 s82, s82, 0xffffff                               // 0000000093B0: 8652FF52 00FFFFFF
	s_mul_i32 s82, s82, s71                                    // 0000000093B8: 92524752
	s_mul_i32 s61, s60, s61                                    // 0000000093BC: 923D3D3C
	s_add_u32 s82, s82, s61                                    // 0000000093C0: 80523D52
	v_mul_lo_u32 v7, v4, s82                                   // 0000000093C4: D2850007 0000A504
	v_add_u32_e32 v47, v6, v7                                  // 0000000093CC: 685E0F06
	v_readlane_b32 s82, v3, 4                                  // 0000000093D0: D2890052 00010903
	s_lshr_b32 s61, s82, 24                                    // 0000000093D8: 8F3D9852
	s_and_b32 s82, s82, 0xffffff                               // 0000000093DC: 8652FF52 00FFFFFF
	s_mul_i32 s82, s82, s71                                    // 0000000093E4: 92524752
	s_mul_i32 s61, s60, s61                                    // 0000000093E8: 923D3D3C
	s_add_u32 s82, s82, s61                                    // 0000000093EC: 80523D52
	v_mul_lo_u32 v6, v5, s82                                   // 0000000093F0: D2850006 0000A505
	v_readlane_b32 s82, v3, 5                                  // 0000000093F8: D2890052 00010B03
	s_lshr_b32 s61, s82, 24                                    // 000000009400: 8F3D9852
	s_and_b32 s82, s82, 0xffffff                               // 000000009404: 8652FF52 00FFFFFF
	s_mul_i32 s82, s82, s71                                    // 00000000940C: 92524752
	s_mul_i32 s61, s60, s61                                    // 000000009410: 923D3D3C
	s_add_u32 s82, s82, s61                                    // 000000009414: 80523D52
	v_mul_lo_u32 v7, v4, s82                                   // 000000009418: D2850007 0000A504
	v_add_u32_e32 v48, v6, v7                                  // 000000009420: 68600F06
	v_readlane_b32 s82, v3, 6                                  // 000000009424: D2890052 00010D03
	s_lshr_b32 s61, s82, 24                                    // 00000000942C: 8F3D9852
	s_and_b32 s82, s82, 0xffffff                               // 000000009430: 8652FF52 00FFFFFF
	s_mul_i32 s82, s82, s71                                    // 000000009438: 92524752
	s_mul_i32 s61, s60, s61                                    // 00000000943C: 923D3D3C
	s_add_u32 s82, s82, s61                                    // 000000009440: 80523D52
	v_mul_lo_u32 v6, v5, s82                                   // 000000009444: D2850006 0000A505
	v_readlane_b32 s82, v3, 7                                  // 00000000944C: D2890052 00010F03
	s_lshr_b32 s61, s82, 24                                    // 000000009454: 8F3D9852
	s_and_b32 s82, s82, 0xffffff                               // 000000009458: 8652FF52 00FFFFFF
	s_mul_i32 s82, s82, s71                                    // 000000009460: 92524752
	s_mul_i32 s61, s60, s61                                    // 000000009464: 923D3D3C
	s_add_u32 s82, s82, s61                                    // 000000009468: 80523D52
	v_mul_lo_u32 v7, v4, s82                                   // 00000000946C: D2850007 0000A504
	v_add_u32_e32 v49, v6, v7                                  // 000000009474: 68620F06
	v_readlane_b32 s82, v3, 8                                  // 000000009478: D2890052 00011103
	s_lshr_b32 s61, s82, 24                                    // 000000009480: 8F3D9852
	s_and_b32 s82, s82, 0xffffff                               // 000000009484: 8652FF52 00FFFFFF
	s_mul_i32 s82, s82, s71                                    // 00000000948C: 92524752
	s_mul_i32 s61, s60, s61                                    // 000000009490: 923D3D3C
	s_add_u32 s82, s82, s61                                    // 000000009494: 80523D52
	v_mul_lo_u32 v6, v5, s82                                   // 000000009498: D2850006 0000A505
	v_readlane_b32 s82, v3, 9                                  // 0000000094A0: D2890052 00011303
	s_lshr_b32 s61, s82, 24                                    // 0000000094A8: 8F3D9852
	s_and_b32 s82, s82, 0xffffff                               // 0000000094AC: 8652FF52 00FFFFFF
	s_mul_i32 s82, s82, s71                                    // 0000000094B4: 92524752
	s_mul_i32 s61, s60, s61                                    // 0000000094B8: 923D3D3C
	s_add_u32 s82, s82, s61                                    // 0000000094BC: 80523D52
	v_mul_lo_u32 v7, v4, s82                                   // 0000000094C0: D2850007 0000A504
	v_add_u32_e32 v50, v6, v7                                  // 0000000094C8: 68640F06
	v_readlane_b32 s82, v3, 10                                 // 0000000094CC: D2890052 00011503
	s_lshr_b32 s61, s82, 24                                    // 0000000094D4: 8F3D9852
	s_and_b32 s82, s82, 0xffffff                               // 0000000094D8: 8652FF52 00FFFFFF
	s_mul_i32 s82, s82, s71                                    // 0000000094E0: 92524752
	s_mul_i32 s61, s60, s61                                    // 0000000094E4: 923D3D3C
	s_add_u32 s82, s82, s61                                    // 0000000094E8: 80523D52
	v_mul_lo_u32 v6, v5, s82                                   // 0000000094EC: D2850006 0000A505
	v_readlane_b32 s82, v3, 11                                 // 0000000094F4: D2890052 00011703
	s_lshr_b32 s61, s82, 24                                    // 0000000094FC: 8F3D9852
	s_and_b32 s82, s82, 0xffffff                               // 000000009500: 8652FF52 00FFFFFF
	s_mul_i32 s82, s82, s71                                    // 000000009508: 92524752
	s_mul_i32 s61, s60, s61                                    // 00000000950C: 923D3D3C
	s_add_u32 s82, s82, s61                                    // 000000009510: 80523D52
	v_mul_lo_u32 v7, v4, s82                                   // 000000009514: D2850007 0000A504
	v_add_u32_e32 v51, v6, v7                                  // 00000000951C: 68660F06
	v_readlane_b32 s82, v3, 12                                 // 000000009520: D2890052 00011903
	s_lshr_b32 s61, s82, 24                                    // 000000009528: 8F3D9852
	s_and_b32 s82, s82, 0xffffff                               // 00000000952C: 8652FF52 00FFFFFF
	s_mul_i32 s82, s82, s71                                    // 000000009534: 92524752
	s_mul_i32 s61, s60, s61                                    // 000000009538: 923D3D3C
	s_add_u32 s82, s82, s61                                    // 00000000953C: 80523D52
	v_mul_lo_u32 v6, v5, s82                                   // 000000009540: D2850006 0000A505
	v_readlane_b32 s82, v3, 13                                 // 000000009548: D2890052 00011B03
	s_lshr_b32 s61, s82, 24                                    // 000000009550: 8F3D9852
	s_and_b32 s82, s82, 0xffffff                               // 000000009554: 8652FF52 00FFFFFF
	s_mul_i32 s82, s82, s71                                    // 00000000955C: 92524752
	s_mul_i32 s61, s60, s61                                    // 000000009560: 923D3D3C
	s_add_u32 s82, s82, s61                                    // 000000009564: 80523D52
	v_mul_lo_u32 v7, v4, s82                                   // 000000009568: D2850007 0000A504
	v_add_u32_e32 v52, v6, v7                                  // 000000009570: 68680F06
	v_readlane_b32 s82, v3, 14                                 // 000000009574: D2890052 00011D03
	s_lshr_b32 s61, s82, 24                                    // 00000000957C: 8F3D9852
	s_and_b32 s82, s82, 0xffffff                               // 000000009580: 8652FF52 00FFFFFF
	s_mul_i32 s82, s82, s71                                    // 000000009588: 92524752
	s_mul_i32 s61, s60, s61                                    // 00000000958C: 923D3D3C
	s_add_u32 s82, s82, s61                                    // 000000009590: 80523D52
	v_mul_lo_u32 v6, v5, s82                                   // 000000009594: D2850006 0000A505
	v_readlane_b32 s82, v3, 15                                 // 00000000959C: D2890052 00011F03
	s_lshr_b32 s61, s82, 24                                    // 0000000095A4: 8F3D9852
	s_and_b32 s82, s82, 0xffffff                               // 0000000095A8: 8652FF52 00FFFFFF
	s_mul_i32 s82, s82, s71                                    // 0000000095B0: 92524752
	s_mul_i32 s61, s60, s61                                    // 0000000095B4: 923D3D3C
	s_add_u32 s82, s82, s61                                    // 0000000095B8: 80523D52
	v_mul_lo_u32 v7, v4, s82                                   // 0000000095BC: D2850007 0000A504
	v_add_u32_e32 v53, v6, v7                                  // 0000000095C4: 686A0F06
	v_and_b32_e32 v4, 31, v0                                   // 0000000095C8: 2608009F
	v_lshrrev_b32_e32 v4, 1, v4                                // 0000000095CC: 20080881
	s_cmp_eq_u32 s88, 0                                        // 0000000095D0: BF068058
	s_cselect_b32 s61, 2, 4                                    // 0000000095D4: 853D8482
	v_mul_lo_u32 v4, v4, s61                                   // 0000000095D8: D2850004 00007B04
	v_and_b32_e64 v5, v0, 1                                    // 0000000095E0: D1130005 00010300
	v_add_u32_e32 v4, v4, v5                                   // 0000000095E8: 68080B04
	v_lshlrev_b32_e32 v4, 2, v4                                // 0000000095EC: 24080882
	v_add_u32_e32 v46, v46, v4                                 // 0000000095F0: 685C092E
	v_add_u32_e32 v47, v47, v4                                 // 0000000095F4: 685E092F
	v_add_u32_e32 v48, v48, v4                                 // 0000000095F8: 68600930
	v_add_u32_e32 v49, v49, v4                                 // 0000000095FC: 68620931
	v_add_u32_e32 v50, v50, v4                                 // 000000009600: 68640932
	v_add_u32_e32 v51, v51, v4                                 // 000000009604: 68660933
	;; [unrolled: 1-line block ×3, first 2 shown]
	v_add_u32_e32 v53, v53, v4                                 // 00000000960C: 686A0935
	s_waitcnt lgkmcnt(0)                                       // 000000009610: BF8CC07F
	s_barrier                                                  // 000000009614: BF8A0000
	ds_read_b32 v56, v21                                       // 000000009618: D86C0000 38000015
	ds_read_b32 v57, v21 offset:64                             // 000000009620: D86C0040 39000015
	ds_read_b32 v58, v21 offset:2176                           // 000000009628: D86C0880 3A000015
	ds_read_b32 v59, v21 offset:2240                           // 000000009630: D86C08C0 3B000015
	ds_read_b32 v60, v21 offset:4352                           // 000000009638: D86C1100 3C000015
	ds_read_b32 v61, v21 offset:4416                           // 000000009640: D86C1140 3D000015
	ds_read_b32 v62, v21 offset:6528                           // 000000009648: D86C1980 3E000015
	ds_read_b32 v63, v21 offset:6592                           // 000000009650: D86C19C0 3F000015
	ds_read_b32 v64, v21 offset:8704                           // 000000009658: D86C2200 40000015
	ds_read_b32 v65, v21 offset:8768                           // 000000009660: D86C2240 41000015
	ds_read_b32 v66, v21 offset:10880                          // 000000009668: D86C2A80 42000015
	ds_read_b32 v67, v21 offset:10944                          // 000000009670: D86C2AC0 43000015
	ds_read_b32 v68, v21 offset:13056                          // 000000009678: D86C3300 44000015
	ds_read_b32 v69, v21 offset:13120                          // 000000009680: D86C3340 45000015
	ds_read_b32 v70, v21 offset:15232                          // 000000009688: D86C3B80 46000015
	ds_read_b32 v71, v21 offset:15296                          // 000000009690: D86C3BC0 47000015
	s_waitcnt lgkmcnt(0)                                       // 000000009698: BF8CC07F
	s_mov_b32 s36, -1                                          // 00000000969C: BEA400C1
	s_mov_b32 s37, -1                                          // 0000000096A0: BEA500C1
	v_mov_b32_e32 v7, 0                                        // 0000000096A4: 7E0E0280
	s_or_b32 s9, s9, 0x40000                                   // 0000000096A8: 8709FF09 00040000
	s_mov_b64 exec, s[36:37]                                   // 0000000096B0: BEFE0124
	v_mov_b32_e32 v6, v46                                      // 0000000096B4: 7E0C032E
	s_mov_b64 s[60:61], 0                                      // 0000000096B8: BEBC0180
	v_readlane_b32 s82, v3, 0                                  // 0000000096BC: D2890052 00010103
	s_and_b32 s82, s82, 0xffffff                               // 0000000096C4: 8652FF52 00FFFFFF
	s_cmp_lt_u32 s82, s66                                      // 0000000096CC: BF0A4252
	s_cselect_b32 s20, s36, s60                                // 0000000096D0: 85143C24
	v_readlane_b32 s82, v3, 1                                  // 0000000096D4: D2890052 00010303
	s_and_b32 s82, s82, 0xffffff                               // 0000000096DC: 8652FF52 00FFFFFF
	s_cmp_lt_u32 s82, s66                                      // 0000000096E4: BF0A4252
	s_cselect_b32 s21, s36, s60                                // 0000000096E8: 85153C24
	s_mov_b64 exec, s[20:21]                                   // 0000000096EC: BEFE0114
	buffer_store_dword v56, v6, s[8:11], 0 offen               // 0000000096F0: E0701000 80023806
	buffer_store_dword v58, v6, s[8:11], 0 offen offset:128    // 0000000096F8: E0701080 80023A06
	s_mov_b64 exec, s[36:37]                                   // 000000009700: BEFE0124
	v_mov_b32_e32 v6, v47                                      // 000000009704: 7E0C032F
	s_mov_b64 s[60:61], 0                                      // 000000009708: BEBC0180
	v_readlane_b32 s82, v3, 2                                  // 00000000970C: D2890052 00010503
	s_and_b32 s82, s82, 0xffffff                               // 000000009714: 8652FF52 00FFFFFF
	s_cmp_lt_u32 s82, s66                                      // 00000000971C: BF0A4252
	s_cselect_b32 s20, s36, s60                                // 000000009720: 85143C24
	v_readlane_b32 s82, v3, 3                                  // 000000009724: D2890052 00010703
	s_and_b32 s82, s82, 0xffffff                               // 00000000972C: 8652FF52 00FFFFFF
	s_cmp_lt_u32 s82, s66                                      // 000000009734: BF0A4252
	s_cselect_b32 s21, s36, s60                                // 000000009738: 85153C24
	s_mov_b64 exec, s[20:21]                                   // 00000000973C: BEFE0114
	buffer_store_dword v57, v6, s[8:11], 0 offen               // 000000009740: E0701000 80023906
	buffer_store_dword v59, v6, s[8:11], 0 offen offset:128    // 000000009748: E0701080 80023B06
	s_mov_b64 exec, s[36:37]                                   // 000000009750: BEFE0124
	v_mov_b32_e32 v6, v48                                      // 000000009754: 7E0C0330
	s_mov_b64 s[60:61], 0                                      // 000000009758: BEBC0180
	v_readlane_b32 s82, v3, 4                                  // 00000000975C: D2890052 00010903
	s_and_b32 s82, s82, 0xffffff                               // 000000009764: 8652FF52 00FFFFFF
	s_cmp_lt_u32 s82, s66                                      // 00000000976C: BF0A4252
	s_cselect_b32 s20, s36, s60                                // 000000009770: 85143C24
	v_readlane_b32 s82, v3, 5                                  // 000000009774: D2890052 00010B03
	s_and_b32 s82, s82, 0xffffff                               // 00000000977C: 8652FF52 00FFFFFF
	s_cmp_lt_u32 s82, s66                                      // 000000009784: BF0A4252
	s_cselect_b32 s21, s36, s60                                // 000000009788: 85153C24
	s_mov_b64 exec, s[20:21]                                   // 00000000978C: BEFE0114
	buffer_store_dword v60, v6, s[8:11], 0 offen               // 000000009790: E0701000 80023C06
	buffer_store_dword v62, v6, s[8:11], 0 offen offset:128    // 000000009798: E0701080 80023E06
	s_mov_b64 exec, s[36:37]                                   // 0000000097A0: BEFE0124
	v_mov_b32_e32 v6, v49                                      // 0000000097A4: 7E0C0331
	s_mov_b64 s[60:61], 0                                      // 0000000097A8: BEBC0180
	v_readlane_b32 s82, v3, 6                                  // 0000000097AC: D2890052 00010D03
	s_and_b32 s82, s82, 0xffffff                               // 0000000097B4: 8652FF52 00FFFFFF
	s_cmp_lt_u32 s82, s66                                      // 0000000097BC: BF0A4252
	s_cselect_b32 s20, s36, s60                                // 0000000097C0: 85143C24
	v_readlane_b32 s82, v3, 7                                  // 0000000097C4: D2890052 00010F03
	s_and_b32 s82, s82, 0xffffff                               // 0000000097CC: 8652FF52 00FFFFFF
	s_cmp_lt_u32 s82, s66                                      // 0000000097D4: BF0A4252
	s_cselect_b32 s21, s36, s60                                // 0000000097D8: 85153C24
	s_mov_b64 exec, s[20:21]                                   // 0000000097DC: BEFE0114
	buffer_store_dword v61, v6, s[8:11], 0 offen               // 0000000097E0: E0701000 80023D06
	buffer_store_dword v63, v6, s[8:11], 0 offen offset:128    // 0000000097E8: E0701080 80023F06
	s_mov_b64 exec, s[36:37]                                   // 0000000097F0: BEFE0124
	v_mov_b32_e32 v6, v50                                      // 0000000097F4: 7E0C0332
	s_mov_b64 s[60:61], 0                                      // 0000000097F8: BEBC0180
	v_readlane_b32 s82, v3, 8                                  // 0000000097FC: D2890052 00011103
	s_and_b32 s82, s82, 0xffffff                               // 000000009804: 8652FF52 00FFFFFF
	s_cmp_lt_u32 s82, s66                                      // 00000000980C: BF0A4252
	s_cselect_b32 s20, s36, s60                                // 000000009810: 85143C24
	v_readlane_b32 s82, v3, 9                                  // 000000009814: D2890052 00011303
	s_and_b32 s82, s82, 0xffffff                               // 00000000981C: 8652FF52 00FFFFFF
	s_cmp_lt_u32 s82, s66                                      // 000000009824: BF0A4252
	s_cselect_b32 s21, s36, s60                                // 000000009828: 85153C24
	s_mov_b64 exec, s[20:21]                                   // 00000000982C: BEFE0114
	buffer_store_dword v64, v6, s[8:11], 0 offen               // 000000009830: E0701000 80024006
	buffer_store_dword v66, v6, s[8:11], 0 offen offset:128    // 000000009838: E0701080 80024206
	s_mov_b64 exec, s[36:37]                                   // 000000009840: BEFE0124
	v_mov_b32_e32 v6, v51                                      // 000000009844: 7E0C0333
	s_mov_b64 s[60:61], 0                                      // 000000009848: BEBC0180
	v_readlane_b32 s82, v3, 10                                 // 00000000984C: D2890052 00011503
	s_and_b32 s82, s82, 0xffffff                               // 000000009854: 8652FF52 00FFFFFF
	s_cmp_lt_u32 s82, s66                                      // 00000000985C: BF0A4252
	s_cselect_b32 s20, s36, s60                                // 000000009860: 85143C24
	v_readlane_b32 s82, v3, 11                                 // 000000009864: D2890052 00011703
	s_and_b32 s82, s82, 0xffffff                               // 00000000986C: 8652FF52 00FFFFFF
	s_cmp_lt_u32 s82, s66                                      // 000000009874: BF0A4252
	s_cselect_b32 s21, s36, s60                                // 000000009878: 85153C24
	s_mov_b64 exec, s[20:21]                                   // 00000000987C: BEFE0114
	buffer_store_dword v65, v6, s[8:11], 0 offen               // 000000009880: E0701000 80024106
	buffer_store_dword v67, v6, s[8:11], 0 offen offset:128    // 000000009888: E0701080 80024306
	s_mov_b64 exec, s[36:37]                                   // 000000009890: BEFE0124
	v_mov_b32_e32 v6, v52                                      // 000000009894: 7E0C0334
	s_mov_b64 s[60:61], 0                                      // 000000009898: BEBC0180
	v_readlane_b32 s82, v3, 12                                 // 00000000989C: D2890052 00011903
	s_and_b32 s82, s82, 0xffffff                               // 0000000098A4: 8652FF52 00FFFFFF
	s_cmp_lt_u32 s82, s66                                      // 0000000098AC: BF0A4252
	s_cselect_b32 s20, s36, s60                                // 0000000098B0: 85143C24
	v_readlane_b32 s82, v3, 13                                 // 0000000098B4: D2890052 00011B03
	s_and_b32 s82, s82, 0xffffff                               // 0000000098BC: 8652FF52 00FFFFFF
	s_cmp_lt_u32 s82, s66                                      // 0000000098C4: BF0A4252
	s_cselect_b32 s21, s36, s60                                // 0000000098C8: 85153C24
	s_mov_b64 exec, s[20:21]                                   // 0000000098CC: BEFE0114
	buffer_store_dword v68, v6, s[8:11], 0 offen               // 0000000098D0: E0701000 80024406
	buffer_store_dword v70, v6, s[8:11], 0 offen offset:128    // 0000000098D8: E0701080 80024606
	s_mov_b64 exec, s[36:37]                                   // 0000000098E0: BEFE0124
	v_mov_b32_e32 v6, v53                                      // 0000000098E4: 7E0C0335
	s_mov_b64 s[60:61], 0                                      // 0000000098E8: BEBC0180
	v_readlane_b32 s82, v3, 14                                 // 0000000098EC: D2890052 00011D03
	s_and_b32 s82, s82, 0xffffff                               // 0000000098F4: 8652FF52 00FFFFFF
	s_cmp_lt_u32 s82, s66                                      // 0000000098FC: BF0A4252
	s_cselect_b32 s20, s36, s60                                // 000000009900: 85143C24
	v_readlane_b32 s82, v3, 15                                 // 000000009904: D2890052 00011F03
	s_and_b32 s82, s82, 0xffffff                               // 00000000990C: 8652FF52 00FFFFFF
	s_cmp_lt_u32 s82, s66                                      // 000000009914: BF0A4252
	s_cselect_b32 s21, s36, s60                                // 000000009918: 85153C24
	s_mov_b64 exec, s[20:21]                                   // 00000000991C: BEFE0114
	buffer_store_dword v69, v6, s[8:11], 0 offen               // 000000009920: E0701000 80024506
	buffer_store_dword v71, v6, s[8:11], 0 offen offset:128    // 000000009928: E0701080 80024706
	s_mov_b64 exec, s[36:37]                                   // 000000009930: BEFE0124
	s_branch label_1FEB                                        // 000000009934: BF82041A

0000000000009938 <label_1BD1>:
	ds_write_b64 v20, v[56:57]                                 // 000000009938: D89A0000 00003814
	ds_write_b64 v20, v[60:61] offset:4352                     // 000000009940: D89A1100 00003C14
	ds_write_b64 v20, v[64:65] offset:8704                     // 000000009948: D89A2200 00004014
	ds_write_b64 v20, v[68:69] offset:13056                    // 000000009950: D89A3300 00004414
	ds_write_b64 v20, v[72:73] offset:2176                     // 000000009958: D89A0880 00004814
	ds_write_b64 v20, v[76:77] offset:6528                     // 000000009960: D89A1980 00004C14
	ds_write_b64 v20, v[80:81] offset:10880                    // 000000009968: D89A2A80 00005014
	ds_write_b64 v20, v[84:85] offset:15232                    // 000000009970: D89A3B80 00005414
	v_lshrrev_b32_e32 v4, 5, v0                                // 000000009978: 20080085
	v_xor_b32_e32 v5, 1, v4                                    // 00000000997C: 2A0A0881
	s_mul_i32 s60, s65, 2                                      // 000000009980: 923C8241
	s_cmp_eq_u32 s88, 0                                        // 000000009984: BF068058
	s_cselect_b32 s61, 1, 4                                    // 000000009988: 853D8481
	s_mul_i32 s60, s61, s60                                    // 00000000998C: 923C3C3D
	v_readlane_b32 s82, v3, 0                                  // 000000009990: D2890052 00010103
	s_lshr_b32 s61, s82, 24                                    // 000000009998: 8F3D9852
	s_and_b32 s82, s82, 0xffffff                               // 00000000999C: 8652FF52 00FFFFFF
	s_mul_i32 s82, s82, s71                                    // 0000000099A4: 92524752
	s_mul_i32 s61, s60, s61                                    // 0000000099A8: 923D3D3C
	s_add_u32 s82, s82, s61                                    // 0000000099AC: 80523D52
	v_mul_lo_u32 v6, v5, s82                                   // 0000000099B0: D2850006 0000A505
	v_readlane_b32 s82, v3, 1                                  // 0000000099B8: D2890052 00010303
	s_lshr_b32 s61, s82, 24                                    // 0000000099C0: 8F3D9852
	s_and_b32 s82, s82, 0xffffff                               // 0000000099C4: 8652FF52 00FFFFFF
	s_mul_i32 s82, s82, s71                                    // 0000000099CC: 92524752
	s_mul_i32 s61, s60, s61                                    // 0000000099D0: 923D3D3C
	s_add_u32 s82, s82, s61                                    // 0000000099D4: 80523D52
	v_mul_lo_u32 v7, v4, s82                                   // 0000000099D8: D2850007 0000A504
	v_add_u32_e32 v46, v6, v7                                  // 0000000099E0: 685C0F06
	v_readlane_b32 s82, v3, 2                                  // 0000000099E4: D2890052 00010503
	s_lshr_b32 s61, s82, 24                                    // 0000000099EC: 8F3D9852
	s_and_b32 s82, s82, 0xffffff                               // 0000000099F0: 8652FF52 00FFFFFF
	s_mul_i32 s82, s82, s71                                    // 0000000099F8: 92524752
	s_mul_i32 s61, s60, s61                                    // 0000000099FC: 923D3D3C
	s_add_u32 s82, s82, s61                                    // 000000009A00: 80523D52
	v_mul_lo_u32 v6, v5, s82                                   // 000000009A04: D2850006 0000A505
	v_readlane_b32 s82, v3, 3                                  // 000000009A0C: D2890052 00010703
	s_lshr_b32 s61, s82, 24                                    // 000000009A14: 8F3D9852
	s_and_b32 s82, s82, 0xffffff                               // 000000009A18: 8652FF52 00FFFFFF
	s_mul_i32 s82, s82, s71                                    // 000000009A20: 92524752
	s_mul_i32 s61, s60, s61                                    // 000000009A24: 923D3D3C
	s_add_u32 s82, s82, s61                                    // 000000009A28: 80523D52
	v_mul_lo_u32 v7, v4, s82                                   // 000000009A2C: D2850007 0000A504
	v_add_u32_e32 v47, v6, v7                                  // 000000009A34: 685E0F06
	v_readlane_b32 s82, v3, 4                                  // 000000009A38: D2890052 00010903
	s_lshr_b32 s61, s82, 24                                    // 000000009A40: 8F3D9852
	s_and_b32 s82, s82, 0xffffff                               // 000000009A44: 8652FF52 00FFFFFF
	s_mul_i32 s82, s82, s71                                    // 000000009A4C: 92524752
	s_mul_i32 s61, s60, s61                                    // 000000009A50: 923D3D3C
	s_add_u32 s82, s82, s61                                    // 000000009A54: 80523D52
	v_mul_lo_u32 v6, v5, s82                                   // 000000009A58: D2850006 0000A505
	v_readlane_b32 s82, v3, 5                                  // 000000009A60: D2890052 00010B03
	s_lshr_b32 s61, s82, 24                                    // 000000009A68: 8F3D9852
	s_and_b32 s82, s82, 0xffffff                               // 000000009A6C: 8652FF52 00FFFFFF
	s_mul_i32 s82, s82, s71                                    // 000000009A74: 92524752
	s_mul_i32 s61, s60, s61                                    // 000000009A78: 923D3D3C
	s_add_u32 s82, s82, s61                                    // 000000009A7C: 80523D52
	v_mul_lo_u32 v7, v4, s82                                   // 000000009A80: D2850007 0000A504
	v_add_u32_e32 v48, v6, v7                                  // 000000009A88: 68600F06
	v_readlane_b32 s82, v3, 6                                  // 000000009A8C: D2890052 00010D03
	s_lshr_b32 s61, s82, 24                                    // 000000009A94: 8F3D9852
	s_and_b32 s82, s82, 0xffffff                               // 000000009A98: 8652FF52 00FFFFFF
	s_mul_i32 s82, s82, s71                                    // 000000009AA0: 92524752
	s_mul_i32 s61, s60, s61                                    // 000000009AA4: 923D3D3C
	s_add_u32 s82, s82, s61                                    // 000000009AA8: 80523D52
	v_mul_lo_u32 v6, v5, s82                                   // 000000009AAC: D2850006 0000A505
	v_readlane_b32 s82, v3, 7                                  // 000000009AB4: D2890052 00010F03
	s_lshr_b32 s61, s82, 24                                    // 000000009ABC: 8F3D9852
	s_and_b32 s82, s82, 0xffffff                               // 000000009AC0: 8652FF52 00FFFFFF
	s_mul_i32 s82, s82, s71                                    // 000000009AC8: 92524752
	s_mul_i32 s61, s60, s61                                    // 000000009ACC: 923D3D3C
	s_add_u32 s82, s82, s61                                    // 000000009AD0: 80523D52
	v_mul_lo_u32 v7, v4, s82                                   // 000000009AD4: D2850007 0000A504
	v_add_u32_e32 v49, v6, v7                                  // 000000009ADC: 68620F06
	v_readlane_b32 s82, v3, 8                                  // 000000009AE0: D2890052 00011103
	s_lshr_b32 s61, s82, 24                                    // 000000009AE8: 8F3D9852
	s_and_b32 s82, s82, 0xffffff                               // 000000009AEC: 8652FF52 00FFFFFF
	s_mul_i32 s82, s82, s71                                    // 000000009AF4: 92524752
	s_mul_i32 s61, s60, s61                                    // 000000009AF8: 923D3D3C
	s_add_u32 s82, s82, s61                                    // 000000009AFC: 80523D52
	v_mul_lo_u32 v6, v5, s82                                   // 000000009B00: D2850006 0000A505
	v_readlane_b32 s82, v3, 9                                  // 000000009B08: D2890052 00011303
	s_lshr_b32 s61, s82, 24                                    // 000000009B10: 8F3D9852
	s_and_b32 s82, s82, 0xffffff                               // 000000009B14: 8652FF52 00FFFFFF
	s_mul_i32 s82, s82, s71                                    // 000000009B1C: 92524752
	s_mul_i32 s61, s60, s61                                    // 000000009B20: 923D3D3C
	s_add_u32 s82, s82, s61                                    // 000000009B24: 80523D52
	v_mul_lo_u32 v7, v4, s82                                   // 000000009B28: D2850007 0000A504
	v_add_u32_e32 v50, v6, v7                                  // 000000009B30: 68640F06
	v_readlane_b32 s82, v3, 10                                 // 000000009B34: D2890052 00011503
	s_lshr_b32 s61, s82, 24                                    // 000000009B3C: 8F3D9852
	s_and_b32 s82, s82, 0xffffff                               // 000000009B40: 8652FF52 00FFFFFF
	s_mul_i32 s82, s82, s71                                    // 000000009B48: 92524752
	s_mul_i32 s61, s60, s61                                    // 000000009B4C: 923D3D3C
	s_add_u32 s82, s82, s61                                    // 000000009B50: 80523D52
	v_mul_lo_u32 v6, v5, s82                                   // 000000009B54: D2850006 0000A505
	v_readlane_b32 s82, v3, 11                                 // 000000009B5C: D2890052 00011703
	s_lshr_b32 s61, s82, 24                                    // 000000009B64: 8F3D9852
	s_and_b32 s82, s82, 0xffffff                               // 000000009B68: 8652FF52 00FFFFFF
	s_mul_i32 s82, s82, s71                                    // 000000009B70: 92524752
	s_mul_i32 s61, s60, s61                                    // 000000009B74: 923D3D3C
	s_add_u32 s82, s82, s61                                    // 000000009B78: 80523D52
	v_mul_lo_u32 v7, v4, s82                                   // 000000009B7C: D2850007 0000A504
	v_add_u32_e32 v51, v6, v7                                  // 000000009B84: 68660F06
	v_readlane_b32 s82, v3, 12                                 // 000000009B88: D2890052 00011903
	s_lshr_b32 s61, s82, 24                                    // 000000009B90: 8F3D9852
	s_and_b32 s82, s82, 0xffffff                               // 000000009B94: 8652FF52 00FFFFFF
	s_mul_i32 s82, s82, s71                                    // 000000009B9C: 92524752
	s_mul_i32 s61, s60, s61                                    // 000000009BA0: 923D3D3C
	s_add_u32 s82, s82, s61                                    // 000000009BA4: 80523D52
	v_mul_lo_u32 v6, v5, s82                                   // 000000009BA8: D2850006 0000A505
	v_readlane_b32 s82, v3, 13                                 // 000000009BB0: D2890052 00011B03
	s_lshr_b32 s61, s82, 24                                    // 000000009BB8: 8F3D9852
	s_and_b32 s82, s82, 0xffffff                               // 000000009BBC: 8652FF52 00FFFFFF
	s_mul_i32 s82, s82, s71                                    // 000000009BC4: 92524752
	s_mul_i32 s61, s60, s61                                    // 000000009BC8: 923D3D3C
	s_add_u32 s82, s82, s61                                    // 000000009BCC: 80523D52
	v_mul_lo_u32 v7, v4, s82                                   // 000000009BD0: D2850007 0000A504
	v_add_u32_e32 v52, v6, v7                                  // 000000009BD8: 68680F06
	v_readlane_b32 s82, v3, 14                                 // 000000009BDC: D2890052 00011D03
	s_lshr_b32 s61, s82, 24                                    // 000000009BE4: 8F3D9852
	s_and_b32 s82, s82, 0xffffff                               // 000000009BE8: 8652FF52 00FFFFFF
	s_mul_i32 s82, s82, s71                                    // 000000009BF0: 92524752
	s_mul_i32 s61, s60, s61                                    // 000000009BF4: 923D3D3C
	s_add_u32 s82, s82, s61                                    // 000000009BF8: 80523D52
	v_mul_lo_u32 v6, v5, s82                                   // 000000009BFC: D2850006 0000A505
	v_readlane_b32 s82, v3, 15                                 // 000000009C04: D2890052 00011F03
	s_lshr_b32 s61, s82, 24                                    // 000000009C0C: 8F3D9852
	s_and_b32 s82, s82, 0xffffff                               // 000000009C10: 8652FF52 00FFFFFF
	s_mul_i32 s82, s82, s71                                    // 000000009C18: 92524752
	s_mul_i32 s61, s60, s61                                    // 000000009C1C: 923D3D3C
	s_add_u32 s82, s82, s61                                    // 000000009C20: 80523D52
	v_mul_lo_u32 v7, v4, s82                                   // 000000009C24: D2850007 0000A504
	v_add_u32_e32 v53, v6, v7                                  // 000000009C2C: 686A0F06
	v_and_b32_e32 v4, 31, v0                                   // 000000009C30: 2608009F
	v_lshrrev_b32_e32 v4, 1, v4                                // 000000009C34: 20080881
	s_cmp_eq_u32 s88, 0                                        // 000000009C38: BF068058
	s_cselect_b32 s61, 2, 4                                    // 000000009C3C: 853D8482
	v_mul_lo_u32 v4, v4, s61                                   // 000000009C40: D2850004 00007B04
	v_and_b32_e64 v5, v0, 1                                    // 000000009C48: D1130005 00010300
	v_add_u32_e32 v4, v4, v5                                   // 000000009C50: 68080B04
	v_lshlrev_b32_e32 v4, 2, v4                                // 000000009C54: 24080882
	v_add_u32_e32 v46, v46, v4                                 // 000000009C58: 685C092E
	v_add_u32_e32 v47, v47, v4                                 // 000000009C5C: 685E092F
	v_add_u32_e32 v48, v48, v4                                 // 000000009C60: 68600930
	v_add_u32_e32 v49, v49, v4                                 // 000000009C64: 68620931
	v_add_u32_e32 v50, v50, v4                                 // 000000009C68: 68640932
	v_add_u32_e32 v51, v51, v4                                 // 000000009C6C: 68660933
	v_add_u32_e32 v52, v52, v4                                 // 000000009C70: 68680934
	v_add_u32_e32 v53, v53, v4                                 // 000000009C74: 686A0935
	s_waitcnt lgkmcnt(0)                                       // 000000009C78: BF8CC07F
	s_barrier                                                  // 000000009C7C: BF8A0000
	ds_read_b32 v56, v21                                       // 000000009C80: D86C0000 38000015
	ds_read_b32 v57, v21 offset:64                             // 000000009C88: D86C0040 39000015
	ds_read_b32 v60, v21 offset:2176                           // 000000009C90: D86C0880 3C000015
	ds_read_b32 v61, v21 offset:2240                           // 000000009C98: D86C08C0 3D000015
	ds_read_b32 v64, v21 offset:4352                           // 000000009CA0: D86C1100 40000015
	ds_read_b32 v65, v21 offset:4416                           // 000000009CA8: D86C1140 41000015
	ds_read_b32 v68, v21 offset:6528                           // 000000009CB0: D86C1980 44000015
	ds_read_b32 v69, v21 offset:6592                           // 000000009CB8: D86C19C0 45000015
	ds_read_b32 v72, v21 offset:8704                           // 000000009CC0: D86C2200 48000015
	ds_read_b32 v73, v21 offset:8768                           // 000000009CC8: D86C2240 49000015
	ds_read_b32 v76, v21 offset:10880                          // 000000009CD0: D86C2A80 4C000015
	ds_read_b32 v77, v21 offset:10944                          // 000000009CD8: D86C2AC0 4D000015
	ds_read_b32 v80, v21 offset:13056                          // 000000009CE0: D86C3300 50000015
	ds_read_b32 v81, v21 offset:13120                          // 000000009CE8: D86C3340 51000015
	ds_read_b32 v84, v21 offset:15232                          // 000000009CF0: D86C3B80 54000015
	ds_read_b32 v85, v21 offset:15296                          // 000000009CF8: D86C3BC0 55000015
	s_waitcnt lgkmcnt(0)                                       // 000000009D00: BF8CC07F
	s_mov_b32 s36, -1                                          // 000000009D04: BEA400C1
	s_mov_b32 s37, -1                                          // 000000009D08: BEA500C1
	v_mov_b32_e32 v7, 0                                        // 000000009D0C: 7E0E0280
	s_mov_b64 exec, s[36:37]                                   // 000000009D10: BEFE0124
	v_mov_b32_e32 v6, v46                                      // 000000009D14: 7E0C032E
	s_mov_b64 s[60:61], 0                                      // 000000009D18: BEBC0180
	v_readlane_b32 s82, v3, 0                                  // 000000009D1C: D2890052 00010103
	s_and_b32 s82, s82, 0xffffff                               // 000000009D24: 8652FF52 00FFFFFF
	s_cmp_lt_u32 s82, s66                                      // 000000009D2C: BF0A4252
	s_cselect_b32 s20, s36, s60                                // 000000009D30: 85143C24
	v_readlane_b32 s82, v3, 1                                  // 000000009D34: D2890052 00010303
	s_and_b32 s82, s82, 0xffffff                               // 000000009D3C: 8652FF52 00FFFFFF
	s_cmp_lt_u32 s82, s66                                      // 000000009D44: BF0A4252
	s_cselect_b32 s21, s36, s60                                // 000000009D48: 85153C24
	s_mov_b64 exec, s[20:21]                                   // 000000009D4C: BEFE0114
	global_atomic_add_f32 v6, v56, s[8:9]                      // 000000009D50: DD348000 00083806
	global_atomic_add_f32 v6, v60, s[8:9] offset:256           // 000000009D58: DD348100 00083C06
	s_mov_b64 exec, s[36:37]                                   // 000000009D60: BEFE0124
	v_mov_b32_e32 v6, v47                                      // 000000009D64: 7E0C032F
	s_mov_b64 s[60:61], 0                                      // 000000009D68: BEBC0180
	v_readlane_b32 s82, v3, 2                                  // 000000009D6C: D2890052 00010503
	s_and_b32 s82, s82, 0xffffff                               // 000000009D74: 8652FF52 00FFFFFF
	s_cmp_lt_u32 s82, s66                                      // 000000009D7C: BF0A4252
	s_cselect_b32 s20, s36, s60                                // 000000009D80: 85143C24
	v_readlane_b32 s82, v3, 3                                  // 000000009D84: D2890052 00010703
	s_and_b32 s82, s82, 0xffffff                               // 000000009D8C: 8652FF52 00FFFFFF
	s_cmp_lt_u32 s82, s66                                      // 000000009D94: BF0A4252
	s_cselect_b32 s21, s36, s60                                // 000000009D98: 85153C24
	s_mov_b64 exec, s[20:21]                                   // 000000009D9C: BEFE0114
	global_atomic_add_f32 v6, v57, s[8:9]                      // 000000009DA0: DD348000 00083906
	global_atomic_add_f32 v6, v61, s[8:9] offset:256           // 000000009DA8: DD348100 00083D06
	s_mov_b64 exec, s[36:37]                                   // 000000009DB0: BEFE0124
	v_mov_b32_e32 v6, v48                                      // 000000009DB4: 7E0C0330
	s_mov_b64 s[60:61], 0                                      // 000000009DB8: BEBC0180
	v_readlane_b32 s82, v3, 4                                  // 000000009DBC: D2890052 00010903
	s_and_b32 s82, s82, 0xffffff                               // 000000009DC4: 8652FF52 00FFFFFF
	s_cmp_lt_u32 s82, s66                                      // 000000009DCC: BF0A4252
	s_cselect_b32 s20, s36, s60                                // 000000009DD0: 85143C24
	v_readlane_b32 s82, v3, 5                                  // 000000009DD4: D2890052 00010B03
	s_and_b32 s82, s82, 0xffffff                               // 000000009DDC: 8652FF52 00FFFFFF
	s_cmp_lt_u32 s82, s66                                      // 000000009DE4: BF0A4252
	s_cselect_b32 s21, s36, s60                                // 000000009DE8: 85153C24
	s_mov_b64 exec, s[20:21]                                   // 000000009DEC: BEFE0114
	global_atomic_add_f32 v6, v64, s[8:9]                      // 000000009DF0: DD348000 00084006
	global_atomic_add_f32 v6, v68, s[8:9] offset:256           // 000000009DF8: DD348100 00084406
	s_mov_b64 exec, s[36:37]                                   // 000000009E00: BEFE0124
	v_mov_b32_e32 v6, v49                                      // 000000009E04: 7E0C0331
	s_mov_b64 s[60:61], 0                                      // 000000009E08: BEBC0180
	v_readlane_b32 s82, v3, 6                                  // 000000009E0C: D2890052 00010D03
	s_and_b32 s82, s82, 0xffffff                               // 000000009E14: 8652FF52 00FFFFFF
	s_cmp_lt_u32 s82, s66                                      // 000000009E1C: BF0A4252
	s_cselect_b32 s20, s36, s60                                // 000000009E20: 85143C24
	v_readlane_b32 s82, v3, 7                                  // 000000009E24: D2890052 00010F03
	s_and_b32 s82, s82, 0xffffff                               // 000000009E2C: 8652FF52 00FFFFFF
	s_cmp_lt_u32 s82, s66                                      // 000000009E34: BF0A4252
	s_cselect_b32 s21, s36, s60                                // 000000009E38: 85153C24
	s_mov_b64 exec, s[20:21]                                   // 000000009E3C: BEFE0114
	global_atomic_add_f32 v6, v65, s[8:9]                      // 000000009E40: DD348000 00084106
	global_atomic_add_f32 v6, v69, s[8:9] offset:256           // 000000009E48: DD348100 00084506
	s_mov_b64 exec, s[36:37]                                   // 000000009E50: BEFE0124
	v_mov_b32_e32 v6, v50                                      // 000000009E54: 7E0C0332
	s_mov_b64 s[60:61], 0                                      // 000000009E58: BEBC0180
	v_readlane_b32 s82, v3, 8                                  // 000000009E5C: D2890052 00011103
	s_and_b32 s82, s82, 0xffffff                               // 000000009E64: 8652FF52 00FFFFFF
	s_cmp_lt_u32 s82, s66                                      // 000000009E6C: BF0A4252
	s_cselect_b32 s20, s36, s60                                // 000000009E70: 85143C24
	v_readlane_b32 s82, v3, 9                                  // 000000009E74: D2890052 00011303
	s_and_b32 s82, s82, 0xffffff                               // 000000009E7C: 8652FF52 00FFFFFF
	s_cmp_lt_u32 s82, s66                                      // 000000009E84: BF0A4252
	s_cselect_b32 s21, s36, s60                                // 000000009E88: 85153C24
	s_mov_b64 exec, s[20:21]                                   // 000000009E8C: BEFE0114
	global_atomic_add_f32 v6, v72, s[8:9]                      // 000000009E90: DD348000 00084806
	global_atomic_add_f32 v6, v76, s[8:9] offset:256           // 000000009E98: DD348100 00084C06
	s_mov_b64 exec, s[36:37]                                   // 000000009EA0: BEFE0124
	v_mov_b32_e32 v6, v51                                      // 000000009EA4: 7E0C0333
	s_mov_b64 s[60:61], 0                                      // 000000009EA8: BEBC0180
	v_readlane_b32 s82, v3, 10                                 // 000000009EAC: D2890052 00011503
	s_and_b32 s82, s82, 0xffffff                               // 000000009EB4: 8652FF52 00FFFFFF
	s_cmp_lt_u32 s82, s66                                      // 000000009EBC: BF0A4252
	s_cselect_b32 s20, s36, s60                                // 000000009EC0: 85143C24
	v_readlane_b32 s82, v3, 11                                 // 000000009EC4: D2890052 00011703
	s_and_b32 s82, s82, 0xffffff                               // 000000009ECC: 8652FF52 00FFFFFF
	s_cmp_lt_u32 s82, s66                                      // 000000009ED4: BF0A4252
	s_cselect_b32 s21, s36, s60                                // 000000009ED8: 85153C24
	s_mov_b64 exec, s[20:21]                                   // 000000009EDC: BEFE0114
	global_atomic_add_f32 v6, v73, s[8:9]                      // 000000009EE0: DD348000 00084906
	global_atomic_add_f32 v6, v77, s[8:9] offset:256           // 000000009EE8: DD348100 00084D06
	s_mov_b64 exec, s[36:37]                                   // 000000009EF0: BEFE0124
	v_mov_b32_e32 v6, v52                                      // 000000009EF4: 7E0C0334
	s_mov_b64 s[60:61], 0                                      // 000000009EF8: BEBC0180
	v_readlane_b32 s82, v3, 12                                 // 000000009EFC: D2890052 00011903
	s_and_b32 s82, s82, 0xffffff                               // 000000009F04: 8652FF52 00FFFFFF
	s_cmp_lt_u32 s82, s66                                      // 000000009F0C: BF0A4252
	s_cselect_b32 s20, s36, s60                                // 000000009F10: 85143C24
	v_readlane_b32 s82, v3, 13                                 // 000000009F14: D2890052 00011B03
	s_and_b32 s82, s82, 0xffffff                               // 000000009F1C: 8652FF52 00FFFFFF
	s_cmp_lt_u32 s82, s66                                      // 000000009F24: BF0A4252
	s_cselect_b32 s21, s36, s60                                // 000000009F28: 85153C24
	s_mov_b64 exec, s[20:21]                                   // 000000009F2C: BEFE0114
	global_atomic_add_f32 v6, v80, s[8:9]                      // 000000009F30: DD348000 00085006
	global_atomic_add_f32 v6, v84, s[8:9] offset:256           // 000000009F38: DD348100 00085406
	s_mov_b64 exec, s[36:37]                                   // 000000009F40: BEFE0124
	v_mov_b32_e32 v6, v53                                      // 000000009F44: 7E0C0335
	s_mov_b64 s[60:61], 0                                      // 000000009F48: BEBC0180
	v_readlane_b32 s82, v3, 14                                 // 000000009F4C: D2890052 00011D03
	s_and_b32 s82, s82, 0xffffff                               // 000000009F54: 8652FF52 00FFFFFF
	s_cmp_lt_u32 s82, s66                                      // 000000009F5C: BF0A4252
	s_cselect_b32 s20, s36, s60                                // 000000009F60: 85143C24
	v_readlane_b32 s82, v3, 15                                 // 000000009F64: D2890052 00011F03
	s_and_b32 s82, s82, 0xffffff                               // 000000009F6C: 8652FF52 00FFFFFF
	s_cmp_lt_u32 s82, s66                                      // 000000009F74: BF0A4252
	s_cselect_b32 s21, s36, s60                                // 000000009F78: 85153C24
	s_mov_b64 exec, s[20:21]                                   // 000000009F7C: BEFE0114
	global_atomic_add_f32 v6, v81, s[8:9]                      // 000000009F80: DD348000 00085106
	global_atomic_add_f32 v6, v85, s[8:9] offset:256           // 000000009F88: DD348100 00085506
	s_mov_b64 exec, s[36:37]                                   // 000000009F90: BEFE0124
	ds_write_b64 v20, v[58:59]                                 // 000000009F94: D89A0000 00003A14
	ds_write_b64 v20, v[62:63] offset:4352                     // 000000009F9C: D89A1100 00003E14
	ds_write_b64 v20, v[66:67] offset:8704                     // 000000009FA4: D89A2200 00004214
	ds_write_b64 v20, v[70:71] offset:13056                    // 000000009FAC: D89A3300 00004614
	ds_write_b64 v20, v[74:75] offset:2176                     // 000000009FB4: D89A0880 00004A14
	ds_write_b64 v20, v[78:79] offset:6528                     // 000000009FBC: D89A1980 00004E14
	ds_write_b64 v20, v[82:83] offset:10880                    // 000000009FC4: D89A2A80 00005214
	ds_write_b64 v20, v[86:87] offset:15232                    // 000000009FCC: D89A3B80 00005614
	s_waitcnt lgkmcnt(0)                                       // 000000009FD4: BF8CC07F
	s_barrier                                                  // 000000009FD8: BF8A0000
	ds_read_b32 v58, v21                                       // 000000009FDC: D86C0000 3A000015
	ds_read_b32 v59, v21 offset:64                             // 000000009FE4: D86C0040 3B000015
	ds_read_b32 v62, v21 offset:2176                           // 000000009FEC: D86C0880 3E000015
	ds_read_b32 v63, v21 offset:2240                           // 000000009FF4: D86C08C0 3F000015
	ds_read_b32 v66, v21 offset:4352                           // 000000009FFC: D86C1100 42000015
	ds_read_b32 v67, v21 offset:4416                           // 00000000A004: D86C1140 43000015
	ds_read_b32 v70, v21 offset:6528                           // 00000000A00C: D86C1980 46000015
	ds_read_b32 v71, v21 offset:6592                           // 00000000A014: D86C19C0 47000015
	ds_read_b32 v74, v21 offset:8704                           // 00000000A01C: D86C2200 4A000015
	ds_read_b32 v75, v21 offset:8768                           // 00000000A024: D86C2240 4B000015
	ds_read_b32 v78, v21 offset:10880                          // 00000000A02C: D86C2A80 4E000015
	ds_read_b32 v79, v21 offset:10944                          // 00000000A034: D86C2AC0 4F000015
	ds_read_b32 v82, v21 offset:13056                          // 00000000A03C: D86C3300 52000015
	ds_read_b32 v83, v21 offset:13120                          // 00000000A044: D86C3340 53000015
	ds_read_b32 v86, v21 offset:15232                          // 00000000A04C: D86C3B80 56000015
	ds_read_b32 v87, v21 offset:15296                          // 00000000A054: D86C3BC0 57000015
	s_waitcnt lgkmcnt(0)                                       // 00000000A05C: BF8CC07F
	v_mov_b32_e32 v7, 0                                        // 00000000A060: 7E0E0280
	s_mov_b64 exec, s[36:37]                                   // 00000000A064: BEFE0124
	v_mov_b32_e32 v6, v46                                      // 00000000A068: 7E0C032E
	s_mov_b64 s[60:61], 0                                      // 00000000A06C: BEBC0180
	v_readlane_b32 s82, v3, 0                                  // 00000000A070: D2890052 00010103
	s_and_b32 s82, s82, 0xffffff                               // 00000000A078: 8652FF52 00FFFFFF
	s_cmp_lt_u32 s82, s66                                      // 00000000A080: BF0A4252
	s_cselect_b32 s20, s36, s60                                // 00000000A084: 85143C24
	v_readlane_b32 s82, v3, 1                                  // 00000000A088: D2890052 00010303
	s_and_b32 s82, s82, 0xffffff                               // 00000000A090: 8652FF52 00FFFFFF
	s_cmp_lt_u32 s82, s66                                      // 00000000A098: BF0A4252
	s_cselect_b32 s21, s36, s60                                // 00000000A09C: 85153C24
	s_mov_b64 exec, s[20:21]                                   // 00000000A0A0: BEFE0114
	global_atomic_add_f32 v6, v58, s[8:9] offset:8             // 00000000A0A4: DD348008 00083A06
	global_atomic_add_f32 v6, v62, s[8:9] offset:264           // 00000000A0AC: DD348108 00083E06
	s_mov_b64 exec, s[36:37]                                   // 00000000A0B4: BEFE0124
	v_mov_b32_e32 v6, v47                                      // 00000000A0B8: 7E0C032F
	s_mov_b64 s[60:61], 0                                      // 00000000A0BC: BEBC0180
	v_readlane_b32 s82, v3, 2                                  // 00000000A0C0: D2890052 00010503
	s_and_b32 s82, s82, 0xffffff                               // 00000000A0C8: 8652FF52 00FFFFFF
	s_cmp_lt_u32 s82, s66                                      // 00000000A0D0: BF0A4252
	s_cselect_b32 s20, s36, s60                                // 00000000A0D4: 85143C24
	v_readlane_b32 s82, v3, 3                                  // 00000000A0D8: D2890052 00010703
	s_and_b32 s82, s82, 0xffffff                               // 00000000A0E0: 8652FF52 00FFFFFF
	s_cmp_lt_u32 s82, s66                                      // 00000000A0E8: BF0A4252
	s_cselect_b32 s21, s36, s60                                // 00000000A0EC: 85153C24
	s_mov_b64 exec, s[20:21]                                   // 00000000A0F0: BEFE0114
	global_atomic_add_f32 v6, v59, s[8:9] offset:8             // 00000000A0F4: DD348008 00083B06
	global_atomic_add_f32 v6, v63, s[8:9] offset:264           // 00000000A0FC: DD348108 00083F06
	s_mov_b64 exec, s[36:37]                                   // 00000000A104: BEFE0124
	v_mov_b32_e32 v6, v48                                      // 00000000A108: 7E0C0330
	s_mov_b64 s[60:61], 0                                      // 00000000A10C: BEBC0180
	v_readlane_b32 s82, v3, 4                                  // 00000000A110: D2890052 00010903
	s_and_b32 s82, s82, 0xffffff                               // 00000000A118: 8652FF52 00FFFFFF
	s_cmp_lt_u32 s82, s66                                      // 00000000A120: BF0A4252
	s_cselect_b32 s20, s36, s60                                // 00000000A124: 85143C24
	v_readlane_b32 s82, v3, 5                                  // 00000000A128: D2890052 00010B03
	s_and_b32 s82, s82, 0xffffff                               // 00000000A130: 8652FF52 00FFFFFF
	s_cmp_lt_u32 s82, s66                                      // 00000000A138: BF0A4252
	s_cselect_b32 s21, s36, s60                                // 00000000A13C: 85153C24
	s_mov_b64 exec, s[20:21]                                   // 00000000A140: BEFE0114
	global_atomic_add_f32 v6, v66, s[8:9] offset:8             // 00000000A144: DD348008 00084206
	global_atomic_add_f32 v6, v70, s[8:9] offset:264           // 00000000A14C: DD348108 00084606
	s_mov_b64 exec, s[36:37]                                   // 00000000A154: BEFE0124
	v_mov_b32_e32 v6, v49                                      // 00000000A158: 7E0C0331
	s_mov_b64 s[60:61], 0                                      // 00000000A15C: BEBC0180
	v_readlane_b32 s82, v3, 6                                  // 00000000A160: D2890052 00010D03
	s_and_b32 s82, s82, 0xffffff                               // 00000000A168: 8652FF52 00FFFFFF
	s_cmp_lt_u32 s82, s66                                      // 00000000A170: BF0A4252
	s_cselect_b32 s20, s36, s60                                // 00000000A174: 85143C24
	v_readlane_b32 s82, v3, 7                                  // 00000000A178: D2890052 00010F03
	s_and_b32 s82, s82, 0xffffff                               // 00000000A180: 8652FF52 00FFFFFF
	s_cmp_lt_u32 s82, s66                                      // 00000000A188: BF0A4252
	s_cselect_b32 s21, s36, s60                                // 00000000A18C: 85153C24
	s_mov_b64 exec, s[20:21]                                   // 00000000A190: BEFE0114
	global_atomic_add_f32 v6, v67, s[8:9] offset:8             // 00000000A194: DD348008 00084306
	global_atomic_add_f32 v6, v71, s[8:9] offset:264           // 00000000A19C: DD348108 00084706
	s_mov_b64 exec, s[36:37]                                   // 00000000A1A4: BEFE0124
	v_mov_b32_e32 v6, v50                                      // 00000000A1A8: 7E0C0332
	s_mov_b64 s[60:61], 0                                      // 00000000A1AC: BEBC0180
	v_readlane_b32 s82, v3, 8                                  // 00000000A1B0: D2890052 00011103
	s_and_b32 s82, s82, 0xffffff                               // 00000000A1B8: 8652FF52 00FFFFFF
	s_cmp_lt_u32 s82, s66                                      // 00000000A1C0: BF0A4252
	s_cselect_b32 s20, s36, s60                                // 00000000A1C4: 85143C24
	v_readlane_b32 s82, v3, 9                                  // 00000000A1C8: D2890052 00011303
	s_and_b32 s82, s82, 0xffffff                               // 00000000A1D0: 8652FF52 00FFFFFF
	s_cmp_lt_u32 s82, s66                                      // 00000000A1D8: BF0A4252
	s_cselect_b32 s21, s36, s60                                // 00000000A1DC: 85153C24
	s_mov_b64 exec, s[20:21]                                   // 00000000A1E0: BEFE0114
	global_atomic_add_f32 v6, v74, s[8:9] offset:8             // 00000000A1E4: DD348008 00084A06
	global_atomic_add_f32 v6, v78, s[8:9] offset:264           // 00000000A1EC: DD348108 00084E06
	s_mov_b64 exec, s[36:37]                                   // 00000000A1F4: BEFE0124
	v_mov_b32_e32 v6, v51                                      // 00000000A1F8: 7E0C0333
	s_mov_b64 s[60:61], 0                                      // 00000000A1FC: BEBC0180
	v_readlane_b32 s82, v3, 10                                 // 00000000A200: D2890052 00011503
	s_and_b32 s82, s82, 0xffffff                               // 00000000A208: 8652FF52 00FFFFFF
	s_cmp_lt_u32 s82, s66                                      // 00000000A210: BF0A4252
	s_cselect_b32 s20, s36, s60                                // 00000000A214: 85143C24
	v_readlane_b32 s82, v3, 11                                 // 00000000A218: D2890052 00011703
	s_and_b32 s82, s82, 0xffffff                               // 00000000A220: 8652FF52 00FFFFFF
	s_cmp_lt_u32 s82, s66                                      // 00000000A228: BF0A4252
	s_cselect_b32 s21, s36, s60                                // 00000000A22C: 85153C24
	s_mov_b64 exec, s[20:21]                                   // 00000000A230: BEFE0114
	global_atomic_add_f32 v6, v75, s[8:9] offset:8             // 00000000A234: DD348008 00084B06
	global_atomic_add_f32 v6, v79, s[8:9] offset:264           // 00000000A23C: DD348108 00084F06
	s_mov_b64 exec, s[36:37]                                   // 00000000A244: BEFE0124
	v_mov_b32_e32 v6, v52                                      // 00000000A248: 7E0C0334
	s_mov_b64 s[60:61], 0                                      // 00000000A24C: BEBC0180
	v_readlane_b32 s82, v3, 12                                 // 00000000A250: D2890052 00011903
	s_and_b32 s82, s82, 0xffffff                               // 00000000A258: 8652FF52 00FFFFFF
	s_cmp_lt_u32 s82, s66                                      // 00000000A260: BF0A4252
	s_cselect_b32 s20, s36, s60                                // 00000000A264: 85143C24
	v_readlane_b32 s82, v3, 13                                 // 00000000A268: D2890052 00011B03
	s_and_b32 s82, s82, 0xffffff                               // 00000000A270: 8652FF52 00FFFFFF
	s_cmp_lt_u32 s82, s66                                      // 00000000A278: BF0A4252
	s_cselect_b32 s21, s36, s60                                // 00000000A27C: 85153C24
	s_mov_b64 exec, s[20:21]                                   // 00000000A280: BEFE0114
	global_atomic_add_f32 v6, v82, s[8:9] offset:8             // 00000000A284: DD348008 00085206
	global_atomic_add_f32 v6, v86, s[8:9] offset:264           // 00000000A28C: DD348108 00085606
	s_mov_b64 exec, s[36:37]                                   // 00000000A294: BEFE0124
	v_mov_b32_e32 v6, v53                                      // 00000000A298: 7E0C0335
	s_mov_b64 s[60:61], 0                                      // 00000000A29C: BEBC0180
	v_readlane_b32 s82, v3, 14                                 // 00000000A2A0: D2890052 00011D03
	s_and_b32 s82, s82, 0xffffff                               // 00000000A2A8: 8652FF52 00FFFFFF
	s_cmp_lt_u32 s82, s66                                      // 00000000A2B0: BF0A4252
	s_cselect_b32 s20, s36, s60                                // 00000000A2B4: 85143C24
	v_readlane_b32 s82, v3, 15                                 // 00000000A2B8: D2890052 00011F03
	s_and_b32 s82, s82, 0xffffff                               // 00000000A2C0: 8652FF52 00FFFFFF
	s_cmp_lt_u32 s82, s66                                      // 00000000A2C8: BF0A4252
	s_cselect_b32 s21, s36, s60                                // 00000000A2CC: 85153C24
	s_mov_b64 exec, s[20:21]                                   // 00000000A2D0: BEFE0114
	global_atomic_add_f32 v6, v83, s[8:9] offset:8             // 00000000A2D4: DD348008 00085306
	global_atomic_add_f32 v6, v87, s[8:9] offset:264           // 00000000A2DC: DD348108 00085706
	s_mov_b64 exec, s[36:37]                                   // 00000000A2E4: BEFE0124
	ds_write_b64 v20, v[88:89]                                 // 00000000A2E8: D89A0000 00005814
	ds_write_b64 v20, v[92:93] offset:4352                     // 00000000A2F0: D89A1100 00005C14
	ds_write_b64 v20, v[96:97] offset:8704                     // 00000000A2F8: D89A2200 00006014
	ds_write_b64 v20, v[100:101] offset:13056                  // 00000000A300: D89A3300 00006414
	ds_write_b64 v20, v[104:105] offset:2176                   // 00000000A308: D89A0880 00006814
	ds_write_b64 v20, v[108:109] offset:6528                   // 00000000A310: D89A1980 00006C14
	ds_write_b64 v20, v[112:113] offset:10880                  // 00000000A318: D89A2A80 00007014
	ds_write_b64 v20, v[116:117] offset:15232                  // 00000000A320: D89A3B80 00007414
	s_waitcnt lgkmcnt(0)                                       // 00000000A328: BF8CC07F
	s_barrier                                                  // 00000000A32C: BF8A0000
	ds_read_b32 v88, v21                                       // 00000000A330: D86C0000 58000015
	ds_read_b32 v89, v21 offset:64                             // 00000000A338: D86C0040 59000015
	ds_read_b32 v92, v21 offset:2176                           // 00000000A340: D86C0880 5C000015
	ds_read_b32 v93, v21 offset:2240                           // 00000000A348: D86C08C0 5D000015
	ds_read_b32 v96, v21 offset:4352                           // 00000000A350: D86C1100 60000015
	ds_read_b32 v97, v21 offset:4416                           // 00000000A358: D86C1140 61000015
	ds_read_b32 v100, v21 offset:6528                          // 00000000A360: D86C1980 64000015
	ds_read_b32 v101, v21 offset:6592                          // 00000000A368: D86C19C0 65000015
	ds_read_b32 v104, v21 offset:8704                          // 00000000A370: D86C2200 68000015
	ds_read_b32 v105, v21 offset:8768                          // 00000000A378: D86C2240 69000015
	ds_read_b32 v108, v21 offset:10880                         // 00000000A380: D86C2A80 6C000015
	ds_read_b32 v109, v21 offset:10944                         // 00000000A388: D86C2AC0 6D000015
	ds_read_b32 v112, v21 offset:13056                         // 00000000A390: D86C3300 70000015
	ds_read_b32 v113, v21 offset:13120                         // 00000000A398: D86C3340 71000015
	ds_read_b32 v116, v21 offset:15232                         // 00000000A3A0: D86C3B80 74000015
	ds_read_b32 v117, v21 offset:15296                         // 00000000A3A8: D86C3BC0 75000015
	s_mul_i32 s60, s65, 4                                      // 00000000A3B0: 923C8441
	s_add_u32 s8, s60, s8                                      // 00000000A3B4: 8008083C
	s_addc_u32 s9, 0, s9                                       // 00000000A3B8: 82090980
	s_waitcnt lgkmcnt(0)                                       // 00000000A3BC: BF8CC07F
	v_mov_b32_e32 v7, 0                                        // 00000000A3C0: 7E0E0280
	s_mov_b64 exec, s[36:37]                                   // 00000000A3C4: BEFE0124
	v_mov_b32_e32 v6, v46                                      // 00000000A3C8: 7E0C032E
	s_mov_b64 s[60:61], 0                                      // 00000000A3CC: BEBC0180
	v_readlane_b32 s82, v3, 0                                  // 00000000A3D0: D2890052 00010103
	s_and_b32 s82, s82, 0xffffff                               // 00000000A3D8: 8652FF52 00FFFFFF
	s_cmp_lt_u32 s82, s66                                      // 00000000A3E0: BF0A4252
	s_cselect_b32 s20, s36, s60                                // 00000000A3E4: 85143C24
	v_readlane_b32 s82, v3, 1                                  // 00000000A3E8: D2890052 00010303
	s_and_b32 s82, s82, 0xffffff                               // 00000000A3F0: 8652FF52 00FFFFFF
	s_cmp_lt_u32 s82, s66                                      // 00000000A3F8: BF0A4252
	s_cselect_b32 s21, s36, s60                                // 00000000A3FC: 85153C24
	s_mov_b64 exec, s[20:21]                                   // 00000000A400: BEFE0114
	global_atomic_add_f32 v6, v88, s[8:9]                      // 00000000A404: DD348000 00085806
	global_atomic_add_f32 v6, v92, s[8:9] offset:256           // 00000000A40C: DD348100 00085C06
	s_mov_b64 exec, s[36:37]                                   // 00000000A414: BEFE0124
	v_mov_b32_e32 v6, v47                                      // 00000000A418: 7E0C032F
	s_mov_b64 s[60:61], 0                                      // 00000000A41C: BEBC0180
	v_readlane_b32 s82, v3, 2                                  // 00000000A420: D2890052 00010503
	s_and_b32 s82, s82, 0xffffff                               // 00000000A428: 8652FF52 00FFFFFF
	s_cmp_lt_u32 s82, s66                                      // 00000000A430: BF0A4252
	s_cselect_b32 s20, s36, s60                                // 00000000A434: 85143C24
	v_readlane_b32 s82, v3, 3                                  // 00000000A438: D2890052 00010703
	s_and_b32 s82, s82, 0xffffff                               // 00000000A440: 8652FF52 00FFFFFF
	s_cmp_lt_u32 s82, s66                                      // 00000000A448: BF0A4252
	s_cselect_b32 s21, s36, s60                                // 00000000A44C: 85153C24
	s_mov_b64 exec, s[20:21]                                   // 00000000A450: BEFE0114
	global_atomic_add_f32 v6, v89, s[8:9]                      // 00000000A454: DD348000 00085906
	global_atomic_add_f32 v6, v93, s[8:9] offset:256           // 00000000A45C: DD348100 00085D06
	s_mov_b64 exec, s[36:37]                                   // 00000000A464: BEFE0124
	v_mov_b32_e32 v6, v48                                      // 00000000A468: 7E0C0330
	s_mov_b64 s[60:61], 0                                      // 00000000A46C: BEBC0180
	v_readlane_b32 s82, v3, 4                                  // 00000000A470: D2890052 00010903
	s_and_b32 s82, s82, 0xffffff                               // 00000000A478: 8652FF52 00FFFFFF
	s_cmp_lt_u32 s82, s66                                      // 00000000A480: BF0A4252
	s_cselect_b32 s20, s36, s60                                // 00000000A484: 85143C24
	v_readlane_b32 s82, v3, 5                                  // 00000000A488: D2890052 00010B03
	s_and_b32 s82, s82, 0xffffff                               // 00000000A490: 8652FF52 00FFFFFF
	s_cmp_lt_u32 s82, s66                                      // 00000000A498: BF0A4252
	s_cselect_b32 s21, s36, s60                                // 00000000A49C: 85153C24
	s_mov_b64 exec, s[20:21]                                   // 00000000A4A0: BEFE0114
	global_atomic_add_f32 v6, v96, s[8:9]                      // 00000000A4A4: DD348000 00086006
	global_atomic_add_f32 v6, v100, s[8:9] offset:256          // 00000000A4AC: DD348100 00086406
	s_mov_b64 exec, s[36:37]                                   // 00000000A4B4: BEFE0124
	v_mov_b32_e32 v6, v49                                      // 00000000A4B8: 7E0C0331
	s_mov_b64 s[60:61], 0                                      // 00000000A4BC: BEBC0180
	v_readlane_b32 s82, v3, 6                                  // 00000000A4C0: D2890052 00010D03
	s_and_b32 s82, s82, 0xffffff                               // 00000000A4C8: 8652FF52 00FFFFFF
	s_cmp_lt_u32 s82, s66                                      // 00000000A4D0: BF0A4252
	s_cselect_b32 s20, s36, s60                                // 00000000A4D4: 85143C24
	v_readlane_b32 s82, v3, 7                                  // 00000000A4D8: D2890052 00010F03
	s_and_b32 s82, s82, 0xffffff                               // 00000000A4E0: 8652FF52 00FFFFFF
	s_cmp_lt_u32 s82, s66                                      // 00000000A4E8: BF0A4252
	s_cselect_b32 s21, s36, s60                                // 00000000A4EC: 85153C24
	s_mov_b64 exec, s[20:21]                                   // 00000000A4F0: BEFE0114
	global_atomic_add_f32 v6, v97, s[8:9]                      // 00000000A4F4: DD348000 00086106
	global_atomic_add_f32 v6, v101, s[8:9] offset:256          // 00000000A4FC: DD348100 00086506
	s_mov_b64 exec, s[36:37]                                   // 00000000A504: BEFE0124
	v_mov_b32_e32 v6, v50                                      // 00000000A508: 7E0C0332
	s_mov_b64 s[60:61], 0                                      // 00000000A50C: BEBC0180
	v_readlane_b32 s82, v3, 8                                  // 00000000A510: D2890052 00011103
	s_and_b32 s82, s82, 0xffffff                               // 00000000A518: 8652FF52 00FFFFFF
	s_cmp_lt_u32 s82, s66                                      // 00000000A520: BF0A4252
	s_cselect_b32 s20, s36, s60                                // 00000000A524: 85143C24
	v_readlane_b32 s82, v3, 9                                  // 00000000A528: D2890052 00011303
	s_and_b32 s82, s82, 0xffffff                               // 00000000A530: 8652FF52 00FFFFFF
	s_cmp_lt_u32 s82, s66                                      // 00000000A538: BF0A4252
	s_cselect_b32 s21, s36, s60                                // 00000000A53C: 85153C24
	s_mov_b64 exec, s[20:21]                                   // 00000000A540: BEFE0114
	global_atomic_add_f32 v6, v104, s[8:9]                     // 00000000A544: DD348000 00086806
	global_atomic_add_f32 v6, v108, s[8:9] offset:256          // 00000000A54C: DD348100 00086C06
	s_mov_b64 exec, s[36:37]                                   // 00000000A554: BEFE0124
	v_mov_b32_e32 v6, v51                                      // 00000000A558: 7E0C0333
	s_mov_b64 s[60:61], 0                                      // 00000000A55C: BEBC0180
	v_readlane_b32 s82, v3, 10                                 // 00000000A560: D2890052 00011503
	s_and_b32 s82, s82, 0xffffff                               // 00000000A568: 8652FF52 00FFFFFF
	s_cmp_lt_u32 s82, s66                                      // 00000000A570: BF0A4252
	s_cselect_b32 s20, s36, s60                                // 00000000A574: 85143C24
	v_readlane_b32 s82, v3, 11                                 // 00000000A578: D2890052 00011703
	s_and_b32 s82, s82, 0xffffff                               // 00000000A580: 8652FF52 00FFFFFF
	s_cmp_lt_u32 s82, s66                                      // 00000000A588: BF0A4252
	s_cselect_b32 s21, s36, s60                                // 00000000A58C: 85153C24
	s_mov_b64 exec, s[20:21]                                   // 00000000A590: BEFE0114
	global_atomic_add_f32 v6, v105, s[8:9]                     // 00000000A594: DD348000 00086906
	global_atomic_add_f32 v6, v109, s[8:9] offset:256          // 00000000A59C: DD348100 00086D06
	s_mov_b64 exec, s[36:37]                                   // 00000000A5A4: BEFE0124
	v_mov_b32_e32 v6, v52                                      // 00000000A5A8: 7E0C0334
	s_mov_b64 s[60:61], 0                                      // 00000000A5AC: BEBC0180
	v_readlane_b32 s82, v3, 12                                 // 00000000A5B0: D2890052 00011903
	s_and_b32 s82, s82, 0xffffff                               // 00000000A5B8: 8652FF52 00FFFFFF
	s_cmp_lt_u32 s82, s66                                      // 00000000A5C0: BF0A4252
	s_cselect_b32 s20, s36, s60                                // 00000000A5C4: 85143C24
	v_readlane_b32 s82, v3, 13                                 // 00000000A5C8: D2890052 00011B03
	s_and_b32 s82, s82, 0xffffff                               // 00000000A5D0: 8652FF52 00FFFFFF
	s_cmp_lt_u32 s82, s66                                      // 00000000A5D8: BF0A4252
	s_cselect_b32 s21, s36, s60                                // 00000000A5DC: 85153C24
	s_mov_b64 exec, s[20:21]                                   // 00000000A5E0: BEFE0114
	global_atomic_add_f32 v6, v112, s[8:9]                     // 00000000A5E4: DD348000 00087006
	global_atomic_add_f32 v6, v116, s[8:9] offset:256          // 00000000A5EC: DD348100 00087406
	s_mov_b64 exec, s[36:37]                                   // 00000000A5F4: BEFE0124
	v_mov_b32_e32 v6, v53                                      // 00000000A5F8: 7E0C0335
	s_mov_b64 s[60:61], 0                                      // 00000000A5FC: BEBC0180
	v_readlane_b32 s82, v3, 14                                 // 00000000A600: D2890052 00011D03
	s_and_b32 s82, s82, 0xffffff                               // 00000000A608: 8652FF52 00FFFFFF
	s_cmp_lt_u32 s82, s66                                      // 00000000A610: BF0A4252
	s_cselect_b32 s20, s36, s60                                // 00000000A614: 85143C24
	v_readlane_b32 s82, v3, 15                                 // 00000000A618: D2890052 00011F03
	s_and_b32 s82, s82, 0xffffff                               // 00000000A620: 8652FF52 00FFFFFF
	s_cmp_lt_u32 s82, s66                                      // 00000000A628: BF0A4252
	s_cselect_b32 s21, s36, s60                                // 00000000A62C: 85153C24
	s_mov_b64 exec, s[20:21]                                   // 00000000A630: BEFE0114
	global_atomic_add_f32 v6, v113, s[8:9]                     // 00000000A634: DD348000 00087106
	global_atomic_add_f32 v6, v117, s[8:9] offset:256          // 00000000A63C: DD348100 00087506
	s_mov_b64 exec, s[36:37]                                   // 00000000A644: BEFE0124
	ds_write_b64 v20, v[90:91]                                 // 00000000A648: D89A0000 00005A14
	ds_write_b64 v20, v[94:95] offset:4352                     // 00000000A650: D89A1100 00005E14
	ds_write_b64 v20, v[98:99] offset:8704                     // 00000000A658: D89A2200 00006214
	ds_write_b64 v20, v[102:103] offset:13056                  // 00000000A660: D89A3300 00006614
	ds_write_b64 v20, v[106:107] offset:2176                   // 00000000A668: D89A0880 00006A14
	ds_write_b64 v20, v[110:111] offset:6528                   // 00000000A670: D89A1980 00006E14
	ds_write_b64 v20, v[114:115] offset:10880                  // 00000000A678: D89A2A80 00007214
	ds_write_b64 v20, v[118:119] offset:15232                  // 00000000A680: D89A3B80 00007614
	s_waitcnt lgkmcnt(0)                                       // 00000000A688: BF8CC07F
	s_barrier                                                  // 00000000A68C: BF8A0000
	ds_read_b32 v90, v21                                       // 00000000A690: D86C0000 5A000015
	ds_read_b32 v91, v21 offset:64                             // 00000000A698: D86C0040 5B000015
	ds_read_b32 v94, v21 offset:2176                           // 00000000A6A0: D86C0880 5E000015
	ds_read_b32 v95, v21 offset:2240                           // 00000000A6A8: D86C08C0 5F000015
	ds_read_b32 v98, v21 offset:4352                           // 00000000A6B0: D86C1100 62000015
	ds_read_b32 v99, v21 offset:4416                           // 00000000A6B8: D86C1140 63000015
	ds_read_b32 v102, v21 offset:6528                          // 00000000A6C0: D86C1980 66000015
	ds_read_b32 v103, v21 offset:6592                          // 00000000A6C8: D86C19C0 67000015
	ds_read_b32 v106, v21 offset:8704                          // 00000000A6D0: D86C2200 6A000015
	ds_read_b32 v107, v21 offset:8768                          // 00000000A6D8: D86C2240 6B000015
	ds_read_b32 v110, v21 offset:10880                         // 00000000A6E0: D86C2A80 6E000015
	ds_read_b32 v111, v21 offset:10944                         // 00000000A6E8: D86C2AC0 6F000015
	ds_read_b32 v114, v21 offset:13056                         // 00000000A6F0: D86C3300 72000015
	ds_read_b32 v115, v21 offset:13120                         // 00000000A6F8: D86C3340 73000015
	ds_read_b32 v118, v21 offset:15232                         // 00000000A700: D86C3B80 76000015
	ds_read_b32 v119, v21 offset:15296                         // 00000000A708: D86C3BC0 77000015
	s_waitcnt lgkmcnt(0)                                       // 00000000A710: BF8CC07F
	v_mov_b32_e32 v7, 0                                        // 00000000A714: 7E0E0280
	s_mov_b64 exec, s[36:37]                                   // 00000000A718: BEFE0124
	v_mov_b32_e32 v6, v46                                      // 00000000A71C: 7E0C032E
	s_mov_b64 s[60:61], 0                                      // 00000000A720: BEBC0180
	v_readlane_b32 s82, v3, 0                                  // 00000000A724: D2890052 00010103
	s_and_b32 s82, s82, 0xffffff                               // 00000000A72C: 8652FF52 00FFFFFF
	s_cmp_lt_u32 s82, s66                                      // 00000000A734: BF0A4252
	s_cselect_b32 s20, s36, s60                                // 00000000A738: 85143C24
	v_readlane_b32 s82, v3, 1                                  // 00000000A73C: D2890052 00010303
	s_and_b32 s82, s82, 0xffffff                               // 00000000A744: 8652FF52 00FFFFFF
	s_cmp_lt_u32 s82, s66                                      // 00000000A74C: BF0A4252
	s_cselect_b32 s21, s36, s60                                // 00000000A750: 85153C24
	s_mov_b64 exec, s[20:21]                                   // 00000000A754: BEFE0114
	global_atomic_add_f32 v6, v90, s[8:9] offset:8             // 00000000A758: DD348008 00085A06
	global_atomic_add_f32 v6, v94, s[8:9] offset:264           // 00000000A760: DD348108 00085E06
	s_mov_b64 exec, s[36:37]                                   // 00000000A768: BEFE0124
	v_mov_b32_e32 v6, v47                                      // 00000000A76C: 7E0C032F
	s_mov_b64 s[60:61], 0                                      // 00000000A770: BEBC0180
	v_readlane_b32 s82, v3, 2                                  // 00000000A774: D2890052 00010503
	s_and_b32 s82, s82, 0xffffff                               // 00000000A77C: 8652FF52 00FFFFFF
	s_cmp_lt_u32 s82, s66                                      // 00000000A784: BF0A4252
	s_cselect_b32 s20, s36, s60                                // 00000000A788: 85143C24
	v_readlane_b32 s82, v3, 3                                  // 00000000A78C: D2890052 00010703
	s_and_b32 s82, s82, 0xffffff                               // 00000000A794: 8652FF52 00FFFFFF
	s_cmp_lt_u32 s82, s66                                      // 00000000A79C: BF0A4252
	s_cselect_b32 s21, s36, s60                                // 00000000A7A0: 85153C24
	s_mov_b64 exec, s[20:21]                                   // 00000000A7A4: BEFE0114
	global_atomic_add_f32 v6, v91, s[8:9] offset:8             // 00000000A7A8: DD348008 00085B06
	global_atomic_add_f32 v6, v95, s[8:9] offset:264           // 00000000A7B0: DD348108 00085F06
	s_mov_b64 exec, s[36:37]                                   // 00000000A7B8: BEFE0124
	v_mov_b32_e32 v6, v48                                      // 00000000A7BC: 7E0C0330
	s_mov_b64 s[60:61], 0                                      // 00000000A7C0: BEBC0180
	v_readlane_b32 s82, v3, 4                                  // 00000000A7C4: D2890052 00010903
	s_and_b32 s82, s82, 0xffffff                               // 00000000A7CC: 8652FF52 00FFFFFF
	s_cmp_lt_u32 s82, s66                                      // 00000000A7D4: BF0A4252
	s_cselect_b32 s20, s36, s60                                // 00000000A7D8: 85143C24
	v_readlane_b32 s82, v3, 5                                  // 00000000A7DC: D2890052 00010B03
	s_and_b32 s82, s82, 0xffffff                               // 00000000A7E4: 8652FF52 00FFFFFF
	s_cmp_lt_u32 s82, s66                                      // 00000000A7EC: BF0A4252
	s_cselect_b32 s21, s36, s60                                // 00000000A7F0: 85153C24
	s_mov_b64 exec, s[20:21]                                   // 00000000A7F4: BEFE0114
	global_atomic_add_f32 v6, v98, s[8:9] offset:8             // 00000000A7F8: DD348008 00086206
	global_atomic_add_f32 v6, v102, s[8:9] offset:264          // 00000000A800: DD348108 00086606
	s_mov_b64 exec, s[36:37]                                   // 00000000A808: BEFE0124
	v_mov_b32_e32 v6, v49                                      // 00000000A80C: 7E0C0331
	s_mov_b64 s[60:61], 0                                      // 00000000A810: BEBC0180
	v_readlane_b32 s82, v3, 6                                  // 00000000A814: D2890052 00010D03
	s_and_b32 s82, s82, 0xffffff                               // 00000000A81C: 8652FF52 00FFFFFF
	s_cmp_lt_u32 s82, s66                                      // 00000000A824: BF0A4252
	s_cselect_b32 s20, s36, s60                                // 00000000A828: 85143C24
	v_readlane_b32 s82, v3, 7                                  // 00000000A82C: D2890052 00010F03
	s_and_b32 s82, s82, 0xffffff                               // 00000000A834: 8652FF52 00FFFFFF
	s_cmp_lt_u32 s82, s66                                      // 00000000A83C: BF0A4252
	s_cselect_b32 s21, s36, s60                                // 00000000A840: 85153C24
	s_mov_b64 exec, s[20:21]                                   // 00000000A844: BEFE0114
	global_atomic_add_f32 v6, v99, s[8:9] offset:8             // 00000000A848: DD348008 00086306
	global_atomic_add_f32 v6, v103, s[8:9] offset:264          // 00000000A850: DD348108 00086706
	s_mov_b64 exec, s[36:37]                                   // 00000000A858: BEFE0124
	v_mov_b32_e32 v6, v50                                      // 00000000A85C: 7E0C0332
	s_mov_b64 s[60:61], 0                                      // 00000000A860: BEBC0180
	v_readlane_b32 s82, v3, 8                                  // 00000000A864: D2890052 00011103
	s_and_b32 s82, s82, 0xffffff                               // 00000000A86C: 8652FF52 00FFFFFF
	s_cmp_lt_u32 s82, s66                                      // 00000000A874: BF0A4252
	s_cselect_b32 s20, s36, s60                                // 00000000A878: 85143C24
	v_readlane_b32 s82, v3, 9                                  // 00000000A87C: D2890052 00011303
	s_and_b32 s82, s82, 0xffffff                               // 00000000A884: 8652FF52 00FFFFFF
	s_cmp_lt_u32 s82, s66                                      // 00000000A88C: BF0A4252
	s_cselect_b32 s21, s36, s60                                // 00000000A890: 85153C24
	s_mov_b64 exec, s[20:21]                                   // 00000000A894: BEFE0114
	global_atomic_add_f32 v6, v106, s[8:9] offset:8            // 00000000A898: DD348008 00086A06
	global_atomic_add_f32 v6, v110, s[8:9] offset:264          // 00000000A8A0: DD348108 00086E06
	s_mov_b64 exec, s[36:37]                                   // 00000000A8A8: BEFE0124
	v_mov_b32_e32 v6, v51                                      // 00000000A8AC: 7E0C0333
	s_mov_b64 s[60:61], 0                                      // 00000000A8B0: BEBC0180
	v_readlane_b32 s82, v3, 10                                 // 00000000A8B4: D2890052 00011503
	s_and_b32 s82, s82, 0xffffff                               // 00000000A8BC: 8652FF52 00FFFFFF
	s_cmp_lt_u32 s82, s66                                      // 00000000A8C4: BF0A4252
	s_cselect_b32 s20, s36, s60                                // 00000000A8C8: 85143C24
	v_readlane_b32 s82, v3, 11                                 // 00000000A8CC: D2890052 00011703
	s_and_b32 s82, s82, 0xffffff                               // 00000000A8D4: 8652FF52 00FFFFFF
	s_cmp_lt_u32 s82, s66                                      // 00000000A8DC: BF0A4252
	s_cselect_b32 s21, s36, s60                                // 00000000A8E0: 85153C24
	s_mov_b64 exec, s[20:21]                                   // 00000000A8E4: BEFE0114
	global_atomic_add_f32 v6, v107, s[8:9] offset:8            // 00000000A8E8: DD348008 00086B06
	global_atomic_add_f32 v6, v111, s[8:9] offset:264          // 00000000A8F0: DD348108 00086F06
	s_mov_b64 exec, s[36:37]                                   // 00000000A8F8: BEFE0124
	v_mov_b32_e32 v6, v52                                      // 00000000A8FC: 7E0C0334
	s_mov_b64 s[60:61], 0                                      // 00000000A900: BEBC0180
	v_readlane_b32 s82, v3, 12                                 // 00000000A904: D2890052 00011903
	s_and_b32 s82, s82, 0xffffff                               // 00000000A90C: 8652FF52 00FFFFFF
	s_cmp_lt_u32 s82, s66                                      // 00000000A914: BF0A4252
	s_cselect_b32 s20, s36, s60                                // 00000000A918: 85143C24
	v_readlane_b32 s82, v3, 13                                 // 00000000A91C: D2890052 00011B03
	s_and_b32 s82, s82, 0xffffff                               // 00000000A924: 8652FF52 00FFFFFF
	s_cmp_lt_u32 s82, s66                                      // 00000000A92C: BF0A4252
	s_cselect_b32 s21, s36, s60                                // 00000000A930: 85153C24
	s_mov_b64 exec, s[20:21]                                   // 00000000A934: BEFE0114
	global_atomic_add_f32 v6, v114, s[8:9] offset:8            // 00000000A938: DD348008 00087206
	global_atomic_add_f32 v6, v118, s[8:9] offset:264          // 00000000A940: DD348108 00087606
	s_mov_b64 exec, s[36:37]                                   // 00000000A948: BEFE0124
	v_mov_b32_e32 v6, v53                                      // 00000000A94C: 7E0C0335
	s_mov_b64 s[60:61], 0                                      // 00000000A950: BEBC0180
	v_readlane_b32 s82, v3, 14                                 // 00000000A954: D2890052 00011D03
	s_and_b32 s82, s82, 0xffffff                               // 00000000A95C: 8652FF52 00FFFFFF
	s_cmp_lt_u32 s82, s66                                      // 00000000A964: BF0A4252
	s_cselect_b32 s20, s36, s60                                // 00000000A968: 85143C24
	v_readlane_b32 s82, v3, 15                                 // 00000000A96C: D2890052 00011F03
	s_and_b32 s82, s82, 0xffffff                               // 00000000A974: 8652FF52 00FFFFFF
	s_cmp_lt_u32 s82, s66                                      // 00000000A97C: BF0A4252
	s_cselect_b32 s21, s36, s60                                // 00000000A980: 85153C24
	s_mov_b64 exec, s[20:21]                                   // 00000000A984: BEFE0114
	global_atomic_add_f32 v6, v115, s[8:9] offset:8            // 00000000A988: DD348008 00087306
	global_atomic_add_f32 v6, v119, s[8:9] offset:264          // 00000000A990: DD348108 00087706
	s_mov_b64 exec, s[36:37]                                   // 00000000A998: BEFE0124
	s_branch label_1FEB                                        // 00000000A99C: BF820000

000000000000a9a0 <label_1FEB>:
	s_waitcnt vmcnt(0) expcnt(0) lgkmcnt(0)                    // 00000000A9A0: BF8C0000
	s_endpgm                                                   // 00000000A9A4: BF810000
